;; amdgpu-corpus repo=ROCm/rocm-libraries kind=harvested arch=n/a opt=n/a

/******************************************/
/* Begin Kernel                           */
/******************************************/
.amdgcn_target "amdgcn-amd-amdhsa--gfx942"
.text
.protected CustomGSUs_Cijk_Ailk_Bljk_F8NH_HHS_BH_Bias_AS_SAB_SAV_MT128x16x128_MI16x16x1_10_Freesize_gfx942
.globl CustomGSUs_Cijk_Ailk_Bljk_F8NH_HHS_BH_Bias_AS_SAB_SAV_MT128x16x128_MI16x16x1_10_Freesize_gfx942
.p2align 8
.type CustomGSUs_Cijk_Ailk_Bljk_F8NH_HHS_BH_Bias_AS_SAB_SAV_MT128x16x128_MI16x16x1_10_Freesize_gfx942,@function
.section .rodata,#alloc
.p2align 6
.amdhsa_kernel CustomGSUs_Cijk_Ailk_Bljk_F8NH_HHS_BH_Bias_AS_SAB_SAV_MT128x16x128_MI16x16x1_10_Freesize_gfx942
  .amdhsa_user_sgpr_kernarg_segment_ptr 1
  .amdhsa_accum_offset 256 // accvgpr offset
  .amdhsa_next_free_vgpr 264 // vgprs
  .amdhsa_next_free_sgpr 100 // sgprs
  .amdhsa_group_segment_fixed_size 38400 // lds bytes
  .amdhsa_private_segment_fixed_size 0
  .amdhsa_system_sgpr_workgroup_id_x 1
  .amdhsa_system_sgpr_workgroup_id_y 1
  .amdhsa_system_sgpr_workgroup_id_z 1
  .amdhsa_system_vgpr_workitem_id 0
  .amdhsa_float_denorm_mode_32 3
  .amdhsa_float_denorm_mode_16_64 3
.end_amdhsa_kernel
.text
/* Num VGPR   =256 */
/* Num AccVGPR=8 */
/* Num SGPR   =100 */

/******************************************/
/* Optimizations and Config:              */
/******************************************/
/* ThreadTile= 8 x 1 */
/* SubGroup= 16 x 16 */
/* VectorWidthA=2 */
/* VectorWidthB=1 */
/* GlobalReadVectorWidthA=8, GlobalReadVectorWidthB=8 */
/* DirectToLdsA=False */
/* DirectToLdsB=False */
/* UseSgprForGRO=False */
.amdgpu_metadata
---
custom.config:
   InternalSupportParams:
      KernArgsVersion: 0
      SupportUserGSU: True
      SupportCustomWGM: True
      SupportCustomStaggerU: False
      UseUniversalArgs: False
amdhsa.version:
  - 1
  - 1
amdhsa.kernels:
  - .name: CustomGSUs_Cijk_Ailk_Bljk_F8NH_HHS_BH_Bias_AS_SAB_SAV_MT128x16x128_MI16x16x1_10_Freesize_gfx942
    .symbol: 'CustomGSUs_Cijk_Ailk_Bljk_F8NH_HHS_BH_Bias_AS_SAB_SAV_MT128x16x128_MI16x16x1_10_Freesize_gfx942.kd'
    .language:                   OpenCL C
    .language_version:
      - 2
      - 0
    .args:
      - .name:            SizesFree0
        .size:            4
        .offset:          0
        .value_kind:      by_value
        .value_type:      u32
      - .name:            SizesFree1
        .size:            4
        .offset:          4
        .value_kind:      by_value
        .value_type:      u32
      - .name:            SizesFree2
        .size:            4
        .offset:          8
        .value_kind:      by_value
        .value_type:      u32
      - .name:            SizesSum0
        .size:            4
        .offset:          12
        .value_kind:      by_value
        .value_type:      u32
      - .name:            D
        .size:            8
        .offset:          16
        .value_kind:      global_buffer
        .value_type:      f16
        .address_space:   generic
      - .name:            C
        .size:            8
        .offset:          24
        .value_kind:      global_buffer
        .value_type:      f16
        .address_space:   generic
      - .name:            A
        .size:            8
        .offset:          32
        .value_kind:      global_buffer
        .value_type:      f16
        .address_space:   generic
      - .name:            B
        .size:            8
        .offset:          40
        .value_kind:      global_buffer
        .value_type:      f16
        .address_space:   generic
      - .name:            strideD0
        .size:            4
        .offset:          48
        .value_kind:      by_value
        .value_type:      u32
      - .name:            strideD1
        .size:            4
        .offset:          52
        .value_kind:      by_value
        .value_type:      u32
      - .name:            strideC0
        .size:            4
        .offset:          56
        .value_kind:      by_value
        .value_type:      u32
      - .name:            strideC1
        .size:            4
        .offset:          60
        .value_kind:      by_value
        .value_type:      u32
      - .name:            strideA0
        .size:            4
        .offset:          64
        .value_kind:      by_value
        .value_type:      u32
      - .name:            strideA1
        .size:            4
        .offset:          68
        .value_kind:      by_value
        .value_type:      u32
      - .name:            strideB0
        .size:            4
        .offset:          72
        .value_kind:      by_value
        .value_type:      u32
      - .name:            strideB1
        .size:            4
        .offset:          76
        .value_kind:      by_value
        .value_type:      u32
      - .name:            alpha
        .size:            4
        .offset:          80
        .value_kind:      by_value
        .value_type:      f32
      - .name:            beta
        .size:            4
        .offset:          84
        .value_kind:      by_value
        .value_type:      f32
      - .name:            internalArgs
        .size:            4
        .offset:          88
        .value_kind:      by_value
        .value_type:      u32
      - .name:            AddressScaleA
        .size:            8
        .offset:          92
        .value_kind:      global_buffer
        .value_type:      f32
        .address_space:   generic
      - .name:            AddressScaleB
        .size:            8
        .offset:          100
        .value_kind:      global_buffer
        .value_type:      f32
        .address_space:   generic
      - .name:            AddressScaleAlphaVec
        .size:            8
        .offset:          108
        .value_kind:      global_buffer
        .value_type:      f32
        .address_space:   generic
      - .name:            bias
        .size:            8
        .offset:          116
        .value_kind:      global_buffer
        .value_type:      void
        .address_space:   generic
      - .name:            biasType
        .size:            4
        .offset:          124
        .value_kind:      by_value
        .value_type:      u32
      - .name:            StrideBias
        .size:            4
        .offset:          128
        .value_kind:      by_value
        .value_type:      u32
      - .name:            activationAlpha
        .size:            4
        .offset:          132
        .value_kind:      by_value
        .value_type:      f32
      - .name:            activationBeta
        .size:            4
        .offset:          136
        .value_kind:      by_value
        .value_type:      f32
      - .name:            activationType
        .size:            4
        .offset:          140
        .value_kind:      by_value
        .value_type:      u32
      - .name:            dstD
        .size:            8
        .offset:          144
        .value_kind:      global_buffer
        .value_type:      f16
        .address_space:   generic
      - .name:            Synchronizer
        .size:            8
        .offset:          152
        .value_kind:      global_buffer
        .value_type:      f32
        .address_space:   generic
      - .name:            GSUSync
        .size:            4
        .offset:          160
        .value_kind:      by_value
        .value_type:      u32
    .group_segment_fixed_size:   38400
    .kernarg_segment_align:      8
    .kernarg_segment_size:       168
    .max_flat_workgroup_size:    256
    .private_segment_fixed_size: 0
    .sgpr_count:                 100
    .sgpr_spill_count:           0
    .vgpr_count:                 256
    .vgpr_spill_count:           0
    .wavefront_size:             64
...
.end_amdgpu_metadata
CustomGSUs_Cijk_Ailk_Bljk_F8NH_HHS_BH_Bias_AS_SAB_SAV_MT128x16x128_MI16x16x1_10_Freesize_gfx942:
.long 0xC0120700, 0x00000000
.long 0xC00A0B00, 0x00000040
	;; [unrolled: 1-line block ×7, first 2 shown]
.long 0x7ECC0300
.long 0x2602CCBF
	;; [unrolled: 1-line block ×28, first 2 shown]
.long 0xBEC900FF, 0x00000080
.long 0xD2850002, 0x00020449
	;; [unrolled: 1-line block ×3, first 2 shown]
.long 0x2006C88B
.long 0x24060686
	;; [unrolled: 1-line block ×5, first 2 shown]
.long 0xD2850000, 0x00020049
.long 0xD1FE0065, 0x02060300
.long 0x2004CA88
.long 0x24040485
	;; [unrolled: 1-line block ×3, first 2 shown]
.long 0x32CACAFF, 0x00008400
.long 0x2608CCBF
.long 0x20020884
	;; [unrolled: 1-line block ×5, first 2 shown]
.long 0xD2850001, 0x00020305
.long 0x68020304
.long 0x24000083
	;; [unrolled: 1-line block ×12, first 2 shown]
.long 0x106808FF, 0x00000080
.long 0xD1FE0034, 0x02066900
.long 0x200C688B
.long 0x240C0C86
	;; [unrolled: 1-line block ×3, first 2 shown]
.long 0x106A04FF, 0x00000080
.long 0xD1FE0035, 0x02066B05
.long 0x200C6A88
.long 0x240C0C85
	;; [unrolled: 1-line block ×3, first 2 shown]
.long 0x326A6AFF, 0x00008400
.long 0xBF8CC07F
.long 0x8609FF32, 0x0000FF00
.long 0x8F098809
	;; [unrolled: 2-line block ×3, first 2 shown]
.long 0x8632FF32, 0x000000FF
.long 0x7E1002FF, 0x00000080
.long 0x7E0E021C
.long 0x7E0C0D08
	;; [unrolled: 1-line block ×8, first 2 shown]
.long 0xD0CD006A, 0x00010109
.long 0xD11C6A06, 0x01A90106
.long 0x7E100290
.long 0x7E0E021D
	;; [unrolled: 1-line block ×10, first 2 shown]
.long 0xD0CD006A, 0x00010109
.long 0xD11C6A06, 0x01A90106
.long 0xBF800000
.long 0x7E2A0506
	;; [unrolled: 1-line block ×6, first 2 shown]
.long 0xD042006A, 0x00010030
.long 0xBF860001
.long 0xBE9F0080
	;; [unrolled: 1-line block ×9, first 2 shown]
.long 0xD1080007, 0x00006506
.long 0x6A0E0E03
.long 0xD0DA007E, 0x00006507
.long 0x680C0C81
.long 0x7E0E0280
	;; [unrolled: 1-line block ×18, first 2 shown]
.long 0xD1080007, 0x00001306
.long 0x6A0E0E03
.long 0xD0DA007E, 0x00001307
.long 0x680C0C81
.long 0xBEFE01C1
	;; [unrolled: 1-line block ×12, first 2 shown]
.long 0xD1080007, 0x00001306
.long 0x6A0E0E15
.long 0xD0DA007E, 0x00001307
.long 0x680C0C81
.long 0xBEFE01C1
	;; [unrolled: 1-line block ×14, first 2 shown]
.long 0xD1080007, 0x00009506
.long 0x6A0E0E4D
.long 0xD0DA007E, 0x00009507
.long 0x680C0C81
.long 0x7E0E0280
	;; [unrolled: 1-line block ×18, first 2 shown]
.long 0x9249FF02, 0x00000080
.long 0x80C9491C
.long 0x80C98849
	;; [unrolled: 1-line block ×4, first 2 shown]
.long 0xD2850011, 0x0002102C
.long 0x326C2306
.long 0x686C6C88
.long 0xD2850011, 0x0002122C
.long 0x326E2306
.long 0x686E6E88
	;; [unrolled: 3-line block ×9, first 2 shown]
.long 0x247C7C81
.long 0x964DFF02, 0x00000080
.long 0x924CFF02, 0x00000080
	;; [unrolled: 1-line block ×4, first 2 shown]
.long 0x964B2C4A
.long 0x924A2C4A
.long 0x804C4A4C
.long 0x824D4B4D
.long 0xBEBC0081
.long 0xBEBD0080
.long 0x80CA811C
.long 0x964B4A81
.long 0x924A4A81
.long 0x803C4A3C
.long 0x823D4B3D
.long 0x80CA811F
.long 0x964B4A2C
.long 0x924A4A2C
.long 0x803C4A3C
.long 0x823D4B3D
.long 0x80BC4C3C
.long 0x82BD4D3D
.long 0x803C883C
.long 0x823D803D
.long 0xBF06803D
.long 0x8536C13C
.long 0x964B042D
.long 0x924A042D
.long 0x804C4A4C
.long 0x824D4B4D
.long 0x80344C24
.long 0x82354D25
.long 0xBEB700FF, 0x00020000
.long 0x964D9003
.long 0x924C9003
	;; [unrolled: 1-line block ×4, first 2 shown]
.long 0x964B06FF, 0x00000080
.long 0x924A06FF, 0x00000080
.long 0x804C4A4C
.long 0x824D4B4D
.long 0xBEBE0081
.long 0xBEBF0080
.long 0x80CA811F
.long 0x964B4A81
.long 0x924A4A81
.long 0x803E4A3E
.long 0x823F4B3F
.long 0x80CA811D
.long 0x964B4A2E
.long 0x924A4A2E
.long 0x803E4A3E
.long 0x823F4B3F
.long 0x80BE4C3E
.long 0x82BF4D3F
.long 0x8EBE813E
.long 0x803E903E
.long 0x823F803F
.long 0xBF06803F
.long 0x853AC13E
.long 0x964B042F
.long 0x924A042F
.long 0x804C4A4C
.long 0x824D4B4D
.long 0x8ECC814C
.long 0x80384C26
.long 0x82394D27
.long 0xBEBB00FF, 0x00020000
.long 0x9249FF32, 0x00000080
.long 0x92452C49
.long 0x9249FF32, 0x00000100
.long 0xBEC60049
.long 0x8F0A871F
	;; [unrolled: 1-line block ×9, first 2 shown]
.long 0xD1080001, 0x00006500
.long 0x6A02020A
.long 0xD0DA007E, 0x00006501
.long 0x68000081
.long 0x7E020280
	;; [unrolled: 1-line block ×9, first 2 shown]
.long 0x864CFF33, 0x00001F00
.long 0x8F4C884C
.long 0x864DFF33, 0x0000E000
.long 0x8633FF33, 0x000000FF
.long 0xBECA0033
.long 0x8E4B4C4A
	;; [unrolled: 1-line block ×13, first 2 shown]
.long 0xBF06FF4D, 0x00002000
.long 0xBF850002
.long 0xBECA0003
.long 0xBF820011
.long 0xBF06FF4D, 0x00004000
.long 0xBF850002
.long 0xBECA00C1
.long 0xBF82000C
	;; [unrolled: 4-line block ×3, first 2 shown]
.long 0x804A024A
.long 0xBF820005
.long 0xBF06FF4D, 0x00008000
.long 0xBF850002
.long 0xBECA00C1
	;; [unrolled: 1-line block ×32, first 2 shown]
.long 0xE0541000, 0x800D4236
.long 0xE0541000, 0x800D4637
	;; [unrolled: 1-line block ×9, first 2 shown]
.long 0x804C810A
.long 0xBF064C40
	;; [unrolled: 1-line block ×22, first 2 shown]
.long 0xBE8E00FF, 0x80000000
.long 0xBE8F00FF, 0x00020000
.long 0xBE900022
.long 0xBE910023
.long 0xBE9200FF, 0x80000000
.long 0xBE9300FF, 0x00020000
.long 0x924C0390
.long 0x964B2A4C
	;; [unrolled: 1-line block ×42, first 2 shown]
.long 0xD3D94000, 0x18000080
.long 0xD3D94001, 0x18000080
	;; [unrolled: 1-line block ×8, first 2 shown]
.long 0xBF06800A
.long 0xBF840006
	;; [unrolled: 1-line block ×3, first 2 shown]
.long 0x814C84FF, 0x000013F0
.long 0x804A4C4A
.long 0x824B804B
	;; [unrolled: 1-line block ×4, first 2 shown]
.long 0x7ED0ACF9, 0x00040642
.long 0x7E8014F9, 0x00061468
	;; [unrolled: 1-line block ×105, first 2 shown]
.long 0xBF06810A
.long 0xBF850012
.long 0xE0541000, 0x800D4236
.long 0xE0541000, 0x800D4637
	;; [unrolled: 1-line block ×9, first 2 shown]
.long 0xBF8CC07F
.long 0xBF8A0000
.long 0xD86C0000, 0x04000064
.long 0xD86C0100, 0x0C000064
	;; [unrolled: 1-line block ×5, first 2 shown]
.long 0xBF06810A
.long 0xBF850359
	;; [unrolled: 1-line block ×5, first 2 shown]
.long 0xD1ED0000, 0x011E090C
.long 0xD1ED0001, 0x011E291C
	;; [unrolled: 1-line block ×10, first 2 shown]
.long 0xBF06400A
.long 0x854A4541
	;; [unrolled: 1-line block ×8, first 2 shown]
.long 0xD3CD8004, 0x04124902
.long 0xD86C2100, 0x06000064
	;; [unrolled: 1-line block ×4, first 2 shown]
.long 0x8536C13C
.long 0xBF8CC37F
.long 0xD1ED0000, 0x011E0B0D
.long 0xD1ED0001, 0x011E2B1D
	;; [unrolled: 1-line block ×7, first 2 shown]
.long 0xBF06400A
.long 0xD3CD8004, 0x04124D02
.long 0xD86C2500, 0x07000064
	;; [unrolled: 1-line block ×4, first 2 shown]
.long 0x854A4643
.long 0xBF8CC37F
.long 0xD1ED0000, 0x011E0D0E
.long 0xD1ED0001, 0x011E2D1E
.long 0xD1ED0002, 0x01220D0E
.long 0xD1ED0003, 0x01222D1E
.long 0xD3CD8000, 0x04025100
.long 0xD86C2800, 0x1F000064
.long 0xD9FE00C0, 0x30000065
.long 0x854B8044
.long 0xD3CD8004, 0x04125102
.long 0xD86C4200, 0x08000064
.long 0xD86C4300, 0x10000064
.long 0x80384A38
.long 0xBF8CC27F
.long 0xD1ED0000, 0x011E0F0F
.long 0xD1ED0001, 0x011E2F1F
.long 0xD1ED0002, 0x01220F0F
.long 0xD1ED0003, 0x01222F1F
.long 0xD3CD8000, 0x04025500
.long 0xD86C4400, 0x18000064
.long 0xD86C4500, 0x20000064
.long 0x82394B39
.long 0xD3CD8004, 0x04125502
.long 0xD86C4600, 0x09000064
.long 0xD86C4700, 0x11000064
	;; [unrolled: 13-line block ×3, first 2 shown]
.long 0xD86C6500, 0x1A000064
.long 0xD86C6600, 0x22000064
	;; [unrolled: 1-line block ×6, first 2 shown]
.long 0xBF06803F
.long 0xBF8CC07F
	;; [unrolled: 1-line block ×4, first 2 shown]
.long 0xD1ED0000, 0x011E1311
.long 0xD1ED0001, 0x011E3321
	;; [unrolled: 1-line block ×5, first 2 shown]
.long 0x853AC13E
.long 0xBF8C0F78
.long 0x7ED0ACF9, 0x00040642
.long 0x7E8014F9, 0x00061468
.long 0x7E8014F9, 0x00061569
.long 0x7ED0ACF9, 0x00050642
.long 0x7E8214F9, 0x00061468
.long 0x7E8214F9, 0x00061569
.long 0x7ED0ACF9, 0x00040643
.long 0x7E8414F9, 0x00061468
.long 0x7E8414F9, 0x00061569
.long 0x7ED0ACF9, 0x00050643
.long 0x7E8614F9, 0x00061468
.long 0x7E8614F9, 0x00061569
.long 0xD9BE0000, 0x00004034
.long 0xE0541000, 0x800D4236
.long 0xBF8C0F78
.long 0x7ED0ACF9, 0x00040646
.long 0x7E8814F9, 0x00061468
.long 0x7E8814F9, 0x00061569
.long 0x7ED0ACF9, 0x00050646
.long 0x7E8A14F9, 0x00061468
.long 0x7E8A14F9, 0x00061569
.long 0x7ED0ACF9, 0x00040647
.long 0x7E8C14F9, 0x00061468
.long 0x7E8C14F9, 0x00061569
.long 0x7ED0ACF9, 0x00050647
.long 0x7E8E14F9, 0x00061468
.long 0x7E8E14F9, 0x00061569
.long 0xD9BE0400, 0x00004434
.long 0xE0541000, 0x800D4637
	;; [unrolled: 15-line block ×8, first 2 shown]
.long 0xBF8C0F78
.long 0xD9BE0000, 0x00006035
.long 0xE05C1000, 0x800E603E
	;; [unrolled: 1-line block ×3, first 2 shown]
.long 0xBF8CCD7F
.long 0xD1ED0000, 0x011E1512
.long 0xD1ED0001, 0x011E3522
.long 0xD1ED0002, 0x01221512
.long 0xD1ED0003, 0x01223522
.long 0xD3CD8000, 0x04026100
.long 0xD3CD8004, 0x04126102
.long 0xBF8CC07F
.long 0xBF8A0000
	;; [unrolled: 1-line block ×3, first 2 shown]
.long 0xD1ED0000, 0x011E1713
.long 0xD1ED0001, 0x011E3723
	;; [unrolled: 1-line block ×11, first 2 shown]
.long 0x808A810A
.long 0xBF00820A
	;; [unrolled: 1-line block ×4, first 2 shown]
.long 0xD1ED0000, 0x011E090C
.long 0xD1ED0001, 0x011E291C
	;; [unrolled: 1-line block ×10, first 2 shown]
.long 0xBF06400A
.long 0x854A4541
	;; [unrolled: 1-line block ×8, first 2 shown]
.long 0xD3CD8004, 0x04124902
.long 0xD86C2100, 0x06000064
	;; [unrolled: 1-line block ×4, first 2 shown]
.long 0x8536C13C
.long 0xBF8CC37F
.long 0xD1ED0000, 0x011E0B0D
.long 0xD1ED0001, 0x011E2B1D
	;; [unrolled: 1-line block ×7, first 2 shown]
.long 0xBF06400A
.long 0xD3CD8004, 0x04124D02
.long 0xD86C2500, 0x07000064
	;; [unrolled: 1-line block ×4, first 2 shown]
.long 0x854A4643
.long 0xBF8CC37F
.long 0xD1ED0000, 0x011E0D0E
.long 0xD1ED0001, 0x011E2D1E
.long 0xD1ED0002, 0x01220D0E
.long 0xD1ED0003, 0x01222D1E
.long 0xD3CD8000, 0x04025100
.long 0xD86C2800, 0x1F000064
.long 0xD9FE00C0, 0x30000065
.long 0x854B8044
.long 0xD3CD8004, 0x04125102
.long 0xD86C4200, 0x08000064
.long 0xD86C4300, 0x10000064
.long 0x80384A38
.long 0xBF8CC27F
.long 0xD1ED0000, 0x011E0F0F
.long 0xD1ED0001, 0x011E2F1F
.long 0xD1ED0002, 0x01220F0F
.long 0xD1ED0003, 0x01222F1F
.long 0xD3CD8000, 0x04025500
.long 0xD86C4400, 0x18000064
.long 0xD86C4500, 0x20000064
.long 0x82394B39
.long 0xD3CD8004, 0x04125502
.long 0xD86C4600, 0x09000064
.long 0xD86C4700, 0x11000064
	;; [unrolled: 13-line block ×3, first 2 shown]
.long 0xD86C6500, 0x1A000064
.long 0xD86C6600, 0x22000064
	;; [unrolled: 1-line block ×6, first 2 shown]
.long 0xBF06803F
.long 0xBF8CC07F
	;; [unrolled: 1-line block ×4, first 2 shown]
.long 0xD1ED0000, 0x011E1311
.long 0xD1ED0001, 0x011E3321
	;; [unrolled: 1-line block ×5, first 2 shown]
.long 0x853AC13E
.long 0xBF8C0F78
.long 0x7ED0ACF9, 0x00040642
.long 0x7E8014F9, 0x00061468
.long 0x7E8014F9, 0x00061569
.long 0x7ED0ACF9, 0x00050642
.long 0x7E8214F9, 0x00061468
.long 0x7E8214F9, 0x00061569
.long 0x7ED0ACF9, 0x00040643
.long 0x7E8414F9, 0x00061468
.long 0x7E8414F9, 0x00061569
.long 0x7ED0ACF9, 0x00050643
.long 0x7E8614F9, 0x00061468
.long 0x7E8614F9, 0x00061569
.long 0xD9BE0000, 0x00004034
.long 0xBF8C0F77
.long 0x7ED0ACF9, 0x00040646
.long 0x7E8814F9, 0x00061468
.long 0x7E8814F9, 0x00061569
.long 0x7ED0ACF9, 0x00050646
.long 0x7E8A14F9, 0x00061468
.long 0x7E8A14F9, 0x00061569
.long 0x7ED0ACF9, 0x00040647
.long 0x7E8C14F9, 0x00061468
.long 0x7E8C14F9, 0x00061569
.long 0x7ED0ACF9, 0x00050647
.long 0x7E8E14F9, 0x00061468
.long 0x7E8E14F9, 0x00061569
.long 0xD9BE0400, 0x00004434
	;; [unrolled: 14-line block ×8, first 2 shown]
.long 0xBF8C0F70
.long 0xD9BE0000, 0x00006035
.long 0xD3CD8004, 0x04125D02
.long 0xBF8CCD7F
.long 0xD1ED0000, 0x011E1512
.long 0xD1ED0001, 0x011E3522
	;; [unrolled: 1-line block ×6, first 2 shown]
.long 0xBF8CC07F
.long 0xBF8A0000
	;; [unrolled: 1-line block ×3, first 2 shown]
.long 0xD1ED0000, 0x011E1713
.long 0xD1ED0001, 0x011E3723
	;; [unrolled: 1-line block ×11, first 2 shown]
.long 0xBF068132
.long 0xBF840000
	;; [unrolled: 1-line block ×3, first 2 shown]
.long 0xD1ED0000, 0x011E090C
.long 0xD1ED0001, 0x011E291C
	;; [unrolled: 1-line block ×14, first 2 shown]
.long 0xBF8CC37F
.long 0xD1ED0000, 0x011E0B0D
.long 0xD1ED0001, 0x011E2B1D
	;; [unrolled: 1-line block ×11, first 2 shown]
.long 0xBF8CC37F
.long 0xD1ED0000, 0x011E0D0E
.long 0xD1ED0001, 0x011E2D1E
.long 0xD1ED0002, 0x01220D0E
.long 0xD1ED0003, 0x01222D1E
.long 0xD3CD8000, 0x04025100
.long 0xD86C2800, 0x1F000064
.long 0xD9FE00C0, 0x30000065
.long 0xD3CD8004, 0x04125102
.long 0xD86C4200, 0x08000064
.long 0xD86C4300, 0x10000064
.long 0xBF8CC27F
.long 0xD1ED0000, 0x011E0F0F
.long 0xD1ED0001, 0x011E2F1F
.long 0xD1ED0002, 0x01220F0F
.long 0xD1ED0003, 0x01222F1F
.long 0xD3CD8000, 0x04025500
.long 0xD86C4400, 0x18000064
.long 0xD86C4500, 0x20000064
.long 0xD3CD8004, 0x04125502
.long 0xD86C4600, 0x09000064
.long 0xD86C4700, 0x11000064
	;; [unrolled: 11-line block ×3, first 2 shown]
.long 0xD86C6500, 0x1A000064
.long 0xD86C6600, 0x22000064
	;; [unrolled: 1-line block ×6, first 2 shown]
.long 0xBF8CC07F
.long 0xBF8A0000
.long 0xBF8CC87F
.long 0xD1ED0000, 0x011E1311
.long 0xD1ED0001, 0x011E3321
	;; [unrolled: 1-line block ×6, first 2 shown]
.long 0xBF8CC47F
.long 0xD1ED0000, 0x011E1512
.long 0xD1ED0001, 0x011E3522
	;; [unrolled: 1-line block ×6, first 2 shown]
.long 0xBF8CC07F
.long 0xD1ED0000, 0x011E1713
.long 0xD1ED0001, 0x011E3723
	;; [unrolled: 1-line block ×7, first 2 shown]
.long 0xBF070706
.long 0xBE8A0280
	;; [unrolled: 1-line block ×27, first 2 shown]
.long 0xE0801000, 0x800D4236
.long 0xE0801001, 0x800D0036
.long 0xE0841002, 0x800D0136
.long 0xE0841003, 0x800D0236
.long 0xE0801004, 0x800D4336
.long 0xE0801005, 0x800D0436
.long 0xE0841006, 0x800D0536
.long 0xE0841007, 0x800D0636
.long 0xBF8C0F76
.long 0x24000088
.long 0x28840142
.long 0xBF8C0F75
.long 0x28840342
.long 0xBF8C0F74
.long 0x24040488
.long 0x28840542
.long 0xBF8C0F72
.long 0x24080888
.long 0x28860943
.long 0xBF8C0F71
.long 0x28860B43
.long 0xBF8C0F70
.long 0x240C0C88
.long 0x28860D43
.long 0xE0801000, 0x800D4637
.long 0xE0801001, 0x800D0037
.long 0xE0841002, 0x800D0137
.long 0xE0841003, 0x800D0237
.long 0xE0801004, 0x800D4737
.long 0xE0801005, 0x800D0437
.long 0xE0841006, 0x800D0537
.long 0xE0841007, 0x800D0637
.long 0xBF8C0F76
.long 0x24000088
.long 0x288C0146
.long 0xBF8C0F75
.long 0x288C0346
.long 0xBF8C0F74
.long 0x24040488
.long 0x288C0546
.long 0xBF8C0F72
.long 0x24080888
.long 0x288E0947
.long 0xBF8C0F71
.long 0x288E0B47
.long 0xBF8C0F70
.long 0x240C0C88
.long 0x288E0D47
	;; [unrolled: 24-line block ×8, first 2 shown]
.long 0xE0901000, 0x800E603E
.long 0xE0941002, 0x800E003E
.long 0xBF8C0F70
.long 0x28C00160
.long 0xE0901004, 0x800E613E
.long 0xE0941006, 0x800E003E
.long 0xBF8C0F70
.long 0x28C20161
	;; [unrolled: 4-line block ×4, first 2 shown]
.long 0xBF8C0F70
.long 0xBF8A0000
.long 0x7E00ACF9, 0x00040642
.long 0x7E8014F9, 0x00061400
	;; [unrolled: 1-line block ×105, first 2 shown]
.long 0x2602CCBF
.long 0x2600028F
	;; [unrolled: 1-line block ×27, first 2 shown]
.long 0xBE8500FF, 0x00000080
.long 0xD2850002, 0x00020405
	;; [unrolled: 1-line block ×3, first 2 shown]
.long 0x2006C88B
.long 0x24060686
.long 0x68C8C903
.long 0x2000CC88
.long 0xBE850090
.long 0xD2850000, 0x00020005
.long 0xD1FE0065, 0x02060300
.long 0x2004CA88
.long 0x24040485
	;; [unrolled: 1-line block ×3, first 2 shown]
.long 0x32CACAFF, 0x00008400
.long 0xBF8CC07F
.long 0xBF8A0000
.long 0xD86C0000, 0x04000064
.long 0xD86C0100, 0x0C000064
	;; [unrolled: 1-line block ×6, first 2 shown]
.long 0x32C8C805
.long 0xBE8500A0
	;; [unrolled: 1-line block ×4, first 2 shown]
.long 0xD1ED0000, 0x011E090C
.long 0xD1ED0001, 0x011E291C
	;; [unrolled: 1-line block ×4, first 2 shown]
.long 0x2668CCBF
.long 0x20686884
	;; [unrolled: 1-line block ×3, first 2 shown]
.long 0xD0C6004A, 0x00001534
.long 0xD1000000, 0x01290100
	;; [unrolled: 1-line block ×7, first 2 shown]
.long 0x6A68680A
.long 0xD0C1004A, 0x00010934
.long 0x8649830A
.long 0x80C94984
.long 0x8E498449
.long 0xD28F0036, 0x00020049
.long 0xD1000000, 0x012A6D00
	;; [unrolled: 1-line block ×9, first 2 shown]
.long 0xBF800001
.long 0xD3CD8000, 0x04024900
.long 0xD3CD8004, 0x04124902
.long 0x818A900A
.long 0x800B900B
.long 0xBF05800A
.long 0xBF84FFB6
.long 0xBF068132
.long 0xC00E0D00, 0x0000005C
.long 0xC00A0F00, 0x0000007C
	;; [unrolled: 1-line block ×4, first 2 shown]
.long 0x7E060202
.long 0x0C0606FF, 0xFFFFFF80
.long 0x3206061C
.long 0x7E0802FF, 0x00000080
.long 0xD0C90042, 0x00020903
	;; [unrolled: 1-line block ×3, first 2 shown]
.long 0x200ACC86
.long 0x260A0A83
	;; [unrolled: 1-line block ×4, first 2 shown]
.long 0xD0CA0042, 0x00020B06
.long 0xD1000003, 0x010A0704
.long 0x20080685
.long 0x240C0A80
	;; [unrolled: 1-line block ×14, first 2 shown]
.long 0xD0CA006A, 0x00010307
.long 0xBF870013
.long 0xD0CA006A, 0x00010507
.long 0xBF870013
.long 0xD0CA006A, 0x00010707
.long 0xBF870013
.long 0xD0CA006A, 0x00010907
.long 0xBF870013
.long 0xD0CA006A, 0x00010B07
.long 0xBF870013
.long 0xD0CA006A, 0x00010D07
.long 0xBF870013
.long 0xD0CA006A, 0x00010F07
.long 0xBF870013
.long 0xBF8200D9
.long 0xD0CA006A, 0x00010104
.long 0xBF870012
.long 0xD0CA006A, 0x00010104
	;; [unrolled: 2-line block ×14, first 2 shown]
.long 0xBF87008A
.long 0xBEC20080
.long 0xD0DA0042, 0x00008506
.long 0x2600CCBF
.long 0x24000082
.long 0xD3D84007, 0x18000107
.long 0xBF800001
.long 0xD3D94000, 0x18000107
.long 0xBEC201C1
.long 0xBEEA2142
	;; [unrolled: 1-line block ×4, first 2 shown]
.long 0xD0DA0042, 0x00008506
.long 0x2600CCBF
.long 0x24000082
.long 0xD3D84007, 0x18000103
.long 0xD3D84008, 0x18000107
.long 0xBF800001
.long 0xD3D94000, 0x18000107
.long 0xD3D94004, 0x18000108
.long 0xBEC201C1
.long 0xBEEA2142
	;; [unrolled: 1-line block ×4, first 2 shown]
.long 0xD0DA0042, 0x00008506
.long 0x2600CCBF
.long 0x24000082
.long 0xD3D84007, 0x18000106
.long 0xD3D84008, 0x18000103
.long 0xD3D84009, 0x18000107
.long 0xBF800001
.long 0xD3D94000, 0x18000107
.long 0xD3D94004, 0x18000108
	;; [unrolled: 1-line block ×3, first 2 shown]
.long 0xBEC201C1
.long 0xBEEA2142
.long 0xBF82007C
.long 0xBEC20080
.long 0xD0DA0042, 0x00008506
.long 0x2600CCBF
.long 0x24000082
.long 0xD3D84007, 0x18000102
.long 0xD3D84008, 0x18000106
	;; [unrolled: 1-line block ×4, first 2 shown]
.long 0xBF800001
.long 0xD3D94000, 0x18000107
.long 0xD3D94004, 0x18000108
	;; [unrolled: 1-line block ×4, first 2 shown]
.long 0xBEC201C1
.long 0xBEEA2142
	;; [unrolled: 1-line block ×4, first 2 shown]
.long 0xD0DA0042, 0x00008506
.long 0x2600CCBF
.long 0x24000082
.long 0xD3D84007, 0x18000105
.long 0xD3D84008, 0x18000102
	;; [unrolled: 1-line block ×5, first 2 shown]
.long 0xBF800001
.long 0xD3D94000, 0x18000107
.long 0xD3D94004, 0x18000108
	;; [unrolled: 1-line block ×5, first 2 shown]
.long 0xBEC201C1
.long 0xBEEA2142
	;; [unrolled: 1-line block ×4, first 2 shown]
.long 0xD0DA0042, 0x00008506
.long 0x2600CCBF
.long 0x24000082
.long 0xD3D84007, 0x18000101
.long 0xD3D84008, 0x18000105
	;; [unrolled: 1-line block ×6, first 2 shown]
.long 0xBF800001
.long 0xD3D94000, 0x18000107
.long 0xD3D94004, 0x18000108
	;; [unrolled: 1-line block ×6, first 2 shown]
.long 0xBEC201C1
.long 0xBEEA2142
	;; [unrolled: 1-line block ×4, first 2 shown]
.long 0xD0DA0042, 0x00008506
.long 0x2600CCBF
.long 0x24000082
.long 0xD3D84007, 0x18000104
.long 0xD3D84008, 0x18000101
	;; [unrolled: 1-line block ×7, first 2 shown]
.long 0xBF800001
.long 0xD3D94000, 0x18000107
.long 0xD3D94004, 0x18000108
	;; [unrolled: 1-line block ×7, first 2 shown]
.long 0xBEC201C1
.long 0xBEEA2142
	;; [unrolled: 1-line block ×5, first 2 shown]
.long 0xD2850001, 0x00020290
.long 0x260ACC8F
.long 0xD1FE0001, 0x02020305
.long 0xD2850002, 0x00005501
	;; [unrolled: 1-line block ×3, first 2 shown]
.long 0x260A0883
.long 0xD2850005, 0x00020A90
.long 0x2600CCBF
.long 0x20000084
	;; [unrolled: 1-line block ×3, first 2 shown]
.long 0xD1FE0000, 0x02060105
.long 0x923302FF, 0x00000080
.long 0x68000033
.long 0x92330390
	;; [unrolled: 1-line block ×7, first 2 shown]
.long 0x815684FF, 0x0007150C
.long 0x80545654
.long 0x82558055
	;; [unrolled: 1-line block ×6, first 2 shown]
.long 0xC0020CDA, 0x00000000
.long 0xBEC100F2
.long 0xBF128036
	;; [unrolled: 1-line block ×3, first 2 shown]
.long 0xC002105B, 0x00000000
.long 0xBEC80038
.long 0xBEC90039
.long 0xBECB00FF, 0x00020000
.long 0xBF128038
.long 0xBF840002
.long 0xBECA0080
.long 0xBF820001
.long 0xBECA001C
.long 0x924A4A84
.long 0xBED300FF, 0x00020000
.long 0xBED200FF, 0x80000000
.long 0x92420390
.long 0x96552A42
	;; [unrolled: 1-line block ×17, first 2 shown]
.long 0xBECF00FF, 0x00020000
.long 0xBF12803A
.long 0xBF840002
	;; [unrolled: 1-line block ×8, first 2 shown]
.long 0x924202FF, 0x00000080
.long 0x6810CC42
.long 0x9242043D
	;; [unrolled: 1-line block ×4, first 2 shown]
.long 0xE0501000, 0x80130408
.long 0x2410CC82
.long 0xBF8C0F70
.long 0xBF8A0000
.long 0xD81A0000, 0x00000408
.long 0xBF820012
.long 0xB4BC0004
.long 0xBF850010
.long 0x924E4E82
.long 0x924202FF, 0x00000080
.long 0x6810CC42
	;; [unrolled: 5-line block ×4, first 2 shown]
.long 0x7E080230
.long 0xBF8CC07F
.long 0xD1050004, 0x00006704
.long 0xD1050004, 0x00008304
.long 0xBF800000
.long 0x7E600504
.long 0xB4310000
.long 0xBF850006
.long 0xBED41C00
.long 0x815684FF, 0x00038854
.long 0x80545654
.long 0x82558055
	;; [unrolled: 1-line block ×3, first 2 shown]
.long 0x86541CFF, 0x0000007F
.long 0x805514C1
.long 0xBF095502
	;; [unrolled: 1-line block ×6, first 2 shown]
.long 0x815684FF, 0x0000F018
.long 0x80545654
.long 0x82558055
	;; [unrolled: 1-line block ×10, first 2 shown]
.long 0x815684FF, 0x0000EFE8
.long 0x80545654
.long 0x82558055
	;; [unrolled: 1-line block ×21, first 2 shown]
.long 0xD1FE0006, 0x020A0103
.long 0xD1FE0007, 0x02060103
	;; [unrolled: 1-line block ×10, first 2 shown]
.long 0xBF800001
.long 0xE07CD000, 0x80032006
.long 0xE07CD010, 0x80032406
.long 0xBF800000
.long 0x92541415
	;; [unrolled: 1-line block ×16, first 2 shown]
.long 0xC2330CCC, 0x00000000
.long 0x965B811C
.long 0x925A811C
	;; [unrolled: 1-line block ×15, first 2 shown]
.long 0x7E1602FF, 0x80000000
.long 0xBEDC0016
.long 0xBEDD0017
	;; [unrolled: 1-line block ×9, first 2 shown]
.long 0xD2850001, 0x00020290
.long 0x260ACCBF
.long 0x200A0A83
	;; [unrolled: 1-line block ×3, first 2 shown]
.long 0xD2850002, 0x00005501
.long 0xD2850003, 0x00005101
.long 0x260A0883
.long 0xD2850005, 0x00020AA0
.long 0x2600CC87
.long 0x24000082
	;; [unrolled: 1-line block ×3, first 2 shown]
.long 0x923302FF, 0x00000080
.long 0x68000033
.long 0x92330390
	;; [unrolled: 1-line block ×3, first 2 shown]
.long 0xD1FE0006, 0x020A0103
.long 0xD1FE0007, 0x02060103
	;; [unrolled: 1-line block ×3, first 2 shown]
.long 0x68100D08
.long 0x924202FF, 0x00000080
.long 0xD1350009, 0x00008500
.long 0x24121282
.long 0xBF8CC07F
	;; [unrolled: 1-line block ×3, first 2 shown]
.long 0xD9FE0000, 0x10000009
.long 0xD9FE0000, 0x14000009
.long 0x24140082
.long 0xE05C1000, 0x8012180A
.long 0xE05C1000, 0x80121C0A
	;; [unrolled: 1-line block ×4, first 2 shown]
.long 0xBE850032
.long 0x81858105
	;; [unrolled: 1-line block ×6, first 2 shown]
.long 0xE05CD000, 0x80173C06
.long 0xE05CD000, 0x80174008
.long 0x81858105
.long 0x805C565C
.long 0x825D575D
.long 0xBF008005
.long 0xBF850598
.long 0xE05CD000, 0x80174406
.long 0xE05CD000, 0x80174808
.long 0x81858105
.long 0x805C565C
.long 0x825D575D
.long 0xBF008005
.long 0xBF85057C
.long 0xE05CD000, 0x80174C06
.long 0xE05CD000, 0x80175008
.long 0x81858105
.long 0x805C565C
.long 0x825D575D
.long 0xBF008005
.long 0xBF850557
.long 0xE05CD000, 0x80175406
.long 0xE05CD000, 0x80175808
.long 0x81858105
.long 0x805C565C
.long 0x825D575D
.long 0xBF008005
.long 0xBF850529
.long 0xE05CD000, 0x80175C06
.long 0xE05CD000, 0x80176008
.long 0x81858105
.long 0x805C565C
.long 0x825D575D
.long 0xBF008005
.long 0xBF8504F2
.long 0xE05CD000, 0x80176406
.long 0xE05CD000, 0x80176808
.long 0x81858105
.long 0x805C565C
.long 0x825D575D
.long 0xBF008005
.long 0xBF8504B2
.long 0xE05CD000, 0x80176C06
.long 0xE05CD000, 0x80177008
.long 0x81858105
.long 0x805C565C
.long 0x825D575D
.long 0xBF008005
.long 0xBF850469
.long 0xE05CD000, 0x80177406
.long 0xE05CD000, 0x80177808
.long 0x81858105
.long 0x805C565C
.long 0x825D575D
.long 0xBF008005
.long 0xBF850417
.long 0xE05CD000, 0x80177C06
.long 0xE05CD000, 0x80178008
.long 0x81858105
.long 0x805C565C
.long 0x825D575D
.long 0xBF008005
.long 0xBF8503BC
.long 0xE05CD000, 0x80178406
.long 0xE05CD000, 0x80178808
.long 0x81858105
.long 0x805C565C
.long 0x825D575D
.long 0xBF008005
.long 0xBF850358
.long 0xE05CD000, 0x80178C06
.long 0xE05CD000, 0x80179008
.long 0x81858105
.long 0x805C565C
.long 0x825D575D
.long 0xBF008005
.long 0xBF8502EB
.long 0xE05CD000, 0x80179406
.long 0xE05CD000, 0x80179808
.long 0x81858105
.long 0x805C565C
.long 0x825D575D
.long 0xBF008005
.long 0xBF850275
.long 0xE05CD000, 0x80179C06
.long 0xE05CD000, 0x8017A008
.long 0x81858105
.long 0x805C565C
.long 0x825D575D
.long 0xBF008005
.long 0xBF8501F6
.long 0xE05CD000, 0x8017A406
.long 0xE05CD000, 0x8017A808
.long 0x81858105
.long 0x805C565C
.long 0x825D575D
.long 0xBF008005
.long 0xBF85016E
.long 0xE05CD000, 0x8017AC06
.long 0xE05CD000, 0x8017B008
.long 0xBF8C4F7C
.long 0xD3B24020, 0x18027920
.long 0xD3B24022, 0x18027D22
.long 0xD3B24024, 0x18028124
.long 0xD3B24026, 0x18028526
.long 0x81858105
.long 0xBF05CE05
.long 0xBF85051D
.long 0x805C565C
.long 0x825D575D
.long 0xD0C60058, 0x00000A80
.long 0xD100000C, 0x01621706
.long 0xD100000D, 0x01621708
.long 0xE05CD000, 0x80173C0C
.long 0xE05CD000, 0x8017400D
.long 0xBF8C4F7C
.long 0xD3B24020, 0x18028920
.long 0xD3B24022, 0x18028D22
.long 0xD3B24024, 0x18029124
.long 0xD3B24026, 0x18029526
.long 0x81858105
.long 0xBF05CE05
.long 0xBF850505
.long 0x805C565C
.long 0x825D575D
.long 0xD0C60058, 0x00000A80
.long 0xD100000C, 0x01621706
.long 0xD100000D, 0x01621708
	;; [unrolled: 15-line block ×15, first 2 shown]
.long 0xE05CD000, 0x8017AC0C
.long 0xE05CD000, 0x8017B00D
.long 0xBF02CE05
.long 0xBF85FE96
	;; [unrolled: 1-line block ×3, first 2 shown]
.long 0xD3B24020, 0x18027920
.long 0xD3B24022, 0x18027D22
.long 0xD3B24024, 0x18028124
.long 0xD3B24026, 0x18028526
.long 0xBF8C4F78
.long 0xD3B24020, 0x18028920
.long 0xD3B24022, 0x18028D22
.long 0xD3B24024, 0x18029124
.long 0xD3B24026, 0x18029526
.long 0xBF8C4F76
	;; [unrolled: 5-line block ×14, first 2 shown]
.long 0xBF8C4F78
.long 0xD3B24020, 0x18027920
.long 0xD3B24022, 0x18027D22
.long 0xD3B24024, 0x18028124
.long 0xD3B24026, 0x18028526
.long 0xBF8C4F76
.long 0xD3B24020, 0x18028920
.long 0xD3B24022, 0x18028D22
.long 0xD3B24024, 0x18029124
.long 0xD3B24026, 0x18029526
	;; [unrolled: 5-line block ×13, first 2 shown]
.long 0xBF8202CA
.long 0xBF8C4F76
.long 0xD3B24020, 0x18027920
.long 0xD3B24022, 0x18027D22
.long 0xD3B24024, 0x18028124
.long 0xD3B24026, 0x18028526
.long 0xBF8C4F74
.long 0xD3B24020, 0x18028920
.long 0xD3B24022, 0x18028D22
.long 0xD3B24024, 0x18029124
.long 0xD3B24026, 0x18029526
	;; [unrolled: 5-line block ×12, first 2 shown]
.long 0xBF82025D
.long 0xBF8C4F74
.long 0xD3B24020, 0x18027920
.long 0xD3B24022, 0x18027D22
.long 0xD3B24024, 0x18028124
.long 0xD3B24026, 0x18028526
.long 0xBF8C4F72
.long 0xD3B24020, 0x18028920
.long 0xD3B24022, 0x18028D22
.long 0xD3B24024, 0x18029124
.long 0xD3B24026, 0x18029526
	;; [unrolled: 5-line block ×11, first 2 shown]
.long 0xBF8201F9
.long 0xBF8C4F72
.long 0xD3B24020, 0x18027920
.long 0xD3B24022, 0x18027D22
.long 0xD3B24024, 0x18028124
.long 0xD3B24026, 0x18028526
.long 0xBF8C4F70
.long 0xD3B24020, 0x18028920
.long 0xD3B24022, 0x18028D22
.long 0xD3B24024, 0x18029124
.long 0xD3B24026, 0x18029526
	;; [unrolled: 5-line block ×10, first 2 shown]
.long 0xBF82019E
.long 0xBF8C4F70
.long 0xD3B24020, 0x18027920
.long 0xD3B24022, 0x18027D22
.long 0xD3B24024, 0x18028124
.long 0xD3B24026, 0x18028526
.long 0xBF8C0F7E
.long 0xD3B24020, 0x18028920
.long 0xD3B24022, 0x18028D22
.long 0xD3B24024, 0x18029124
.long 0xD3B24026, 0x18029526
	;; [unrolled: 5-line block ×9, first 2 shown]
.long 0xBF82014C
.long 0xBF8C0F7E
.long 0xD3B24020, 0x18027920
.long 0xD3B24022, 0x18027D22
.long 0xD3B24024, 0x18028124
.long 0xD3B24026, 0x18028526
.long 0xBF8C0F7C
.long 0xD3B24020, 0x18028920
.long 0xD3B24022, 0x18028D22
.long 0xD3B24024, 0x18029124
.long 0xD3B24026, 0x18029526
	;; [unrolled: 5-line block ×8, first 2 shown]
.long 0xBF820103
.long 0xBF8C0F7C
.long 0xD3B24020, 0x18027920
.long 0xD3B24022, 0x18027D22
.long 0xD3B24024, 0x18028124
.long 0xD3B24026, 0x18028526
.long 0xBF8C0F7A
.long 0xD3B24020, 0x18028920
.long 0xD3B24022, 0x18028D22
.long 0xD3B24024, 0x18029124
.long 0xD3B24026, 0x18029526
	;; [unrolled: 5-line block ×7, first 2 shown]
.long 0xBF8200C3
.long 0xBF8C0F7A
.long 0xD3B24020, 0x18027920
.long 0xD3B24022, 0x18027D22
.long 0xD3B24024, 0x18028124
.long 0xD3B24026, 0x18028526
.long 0xBF8C0F78
.long 0xD3B24020, 0x18028920
.long 0xD3B24022, 0x18028D22
.long 0xD3B24024, 0x18029124
.long 0xD3B24026, 0x18029526
	;; [unrolled: 5-line block ×6, first 2 shown]
.long 0xBF82008C
.long 0xBF8C0F78
.long 0xD3B24020, 0x18027920
.long 0xD3B24022, 0x18027D22
.long 0xD3B24024, 0x18028124
.long 0xD3B24026, 0x18028526
.long 0xBF8C0F76
.long 0xD3B24020, 0x18028920
.long 0xD3B24022, 0x18028D22
.long 0xD3B24024, 0x18029124
.long 0xD3B24026, 0x18029526
.long 0xBF8C0F74
.long 0xD3B24020, 0x18029920
.long 0xD3B24022, 0x18029D22
.long 0xD3B24024, 0x1802A124
.long 0xD3B24026, 0x1802A526
.long 0xBF8C0F72
.long 0xD3B24020, 0x1802A920
.long 0xD3B24022, 0x1802AD22
.long 0xD3B24024, 0x1802B124
.long 0xD3B24026, 0x1802B526
.long 0xBF8C0F70
.long 0xD3B24020, 0x1802B920
.long 0xD3B24022, 0x1802BD22
.long 0xD3B24024, 0x1802C124
.long 0xD3B24026, 0x1802C526
.long 0xBF82005E
.long 0xBF8C0F76
.long 0xD3B24020, 0x18027920
.long 0xD3B24022, 0x18027D22
.long 0xD3B24024, 0x18028124
.long 0xD3B24026, 0x18028526
.long 0xBF8C0F74
.long 0xD3B24020, 0x18028920
.long 0xD3B24022, 0x18028D22
.long 0xD3B24024, 0x18029124
.long 0xD3B24026, 0x18029526
	;; [unrolled: 5-line block ×4, first 2 shown]
.long 0xBF820039
.long 0xBF8C0F74
.long 0xD3B24020, 0x18027920
.long 0xD3B24022, 0x18027D22
.long 0xD3B24024, 0x18028124
.long 0xD3B24026, 0x18028526
.long 0xBF8C0F72
.long 0xD3B24020, 0x18028920
.long 0xD3B24022, 0x18028D22
.long 0xD3B24024, 0x18029124
.long 0xD3B24026, 0x18029526
	;; [unrolled: 5-line block ×3, first 2 shown]
.long 0xBF82001D
.long 0xBF8C0F72
.long 0xD3B24020, 0x18027920
.long 0xD3B24022, 0x18027D22
	;; [unrolled: 1-line block ×4, first 2 shown]
.long 0xBF8C0F70
.long 0xD3B24020, 0x18028920
.long 0xD3B24022, 0x18028D22
	;; [unrolled: 1-line block ×4, first 2 shown]
.long 0xBF82000A
.long 0xBF8C0F70
.long 0xD3B24020, 0x18027920
.long 0xD3B24022, 0x18027D22
	;; [unrolled: 1-line block ×4, first 2 shown]
.long 0xBF820000
.long 0x0A404030
.long 0x0A424230
.long 0x0A444430
.long 0x0A464630
.long 0x0A484830
.long 0x0A4A4A30
.long 0x0A4C4C30
.long 0x0A4E4E30
.long 0xD0CC0038, 0x0001004A
.long 0xD1000018, 0x00E230F2
	;; [unrolled: 1-line block ×20, first 2 shown]
.long 0x7E401520
.long 0x7E421521
.long 0xD2A00020, 0x00024320
.long 0x7E441522
.long 0x7E461523
.long 0xD2A00021, 0x00024722
.long 0xE074D000, 0x80142007
	;; [unrolled: 1-line block ×3, first 2 shown]
.long 0x680E0F08
.long 0x7E481524
	;; [unrolled: 1-line block ×3, first 2 shown]
.long 0xD2A00022, 0x00024B24
.long 0x7E4C1526
.long 0x7E4E1527
.long 0xD2A00023, 0x00024F26
.long 0xE074D000, 0x80142207
.long 0xBF800000
.long 0xBF800000
	;; [unrolled: 1-line block ×3, first 2 shown]
.long 0xD1FE0006, 0x020A0103
.long 0xD1FE0007, 0x02060103
	;; [unrolled: 1-line block ×10, first 2 shown]
.long 0xBF800001
.long 0xE07CD000, 0x80032006
.long 0xE07CD010, 0x80032406
.long 0xBF800000
.long 0x92541415
	;; [unrolled: 1-line block ×16, first 2 shown]
.long 0xC2330CCC, 0x00000000
.long 0x965B811C
.long 0x925A811C
	;; [unrolled: 1-line block ×15, first 2 shown]
.long 0x7E1602FF, 0x80000000
.long 0xBEDC0016
.long 0xBEDD0017
	;; [unrolled: 1-line block ×9, first 2 shown]
.long 0xD2850001, 0x00020290
.long 0x260ACCBF
.long 0x200A0A83
	;; [unrolled: 1-line block ×3, first 2 shown]
.long 0xD2850002, 0x00005501
.long 0xD2850003, 0x00005101
.long 0x260A0883
.long 0xD2850005, 0x00020AA0
.long 0x2600CC87
.long 0x24000082
	;; [unrolled: 1-line block ×3, first 2 shown]
.long 0x923302FF, 0x00000080
.long 0x68000033
.long 0x92330390
	;; [unrolled: 1-line block ×3, first 2 shown]
.long 0xD1FE0006, 0x020A0103
.long 0xD1FE0007, 0x02060103
	;; [unrolled: 1-line block ×3, first 2 shown]
.long 0x68100D08
.long 0x924202FF, 0x00000080
.long 0xD1350009, 0x00008500
.long 0x24121282
.long 0xBF8CC07F
	;; [unrolled: 1-line block ×3, first 2 shown]
.long 0xD9FE0000, 0x10000009
.long 0xD9FE0000, 0x14000009
.long 0x24140082
.long 0xE05C1000, 0x8012180A
.long 0xE05C1000, 0x80121C0A
	;; [unrolled: 1-line block ×4, first 2 shown]
.long 0xBE850032
.long 0x81858105
	;; [unrolled: 1-line block ×6, first 2 shown]
.long 0xE05CD000, 0x80173C06
.long 0xE05CD000, 0x80174008
.long 0x81858105
.long 0x805C565C
.long 0x825D575D
.long 0xBF008005
.long 0xBF850598
.long 0xE05CD000, 0x80174406
.long 0xE05CD000, 0x80174808
.long 0x81858105
.long 0x805C565C
.long 0x825D575D
.long 0xBF008005
.long 0xBF85057C
	;; [unrolled: 7-line block ×14, first 2 shown]
.long 0xE05CD000, 0x8017AC06
.long 0xE05CD000, 0x8017B008
.long 0xBF8C4F7C
.long 0xD3B24020, 0x18027920
.long 0xD3B24022, 0x18027D22
.long 0xD3B24024, 0x18028124
.long 0xD3B24026, 0x18028526
.long 0x81858105
.long 0xBF05CE05
.long 0xBF85051D
.long 0x805C565C
.long 0x825D575D
.long 0xD0C60058, 0x00000A80
.long 0xD100000C, 0x01621706
.long 0xD100000D, 0x01621708
.long 0xE05CD000, 0x80173C0C
.long 0xE05CD000, 0x8017400D
.long 0xBF8C4F7C
.long 0xD3B24020, 0x18028920
.long 0xD3B24022, 0x18028D22
.long 0xD3B24024, 0x18029124
.long 0xD3B24026, 0x18029526
.long 0x81858105
.long 0xBF05CE05
.long 0xBF850505
.long 0x805C565C
.long 0x825D575D
.long 0xD0C60058, 0x00000A80
.long 0xD100000C, 0x01621706
.long 0xD100000D, 0x01621708
.long 0xE05CD000, 0x8017440C
.long 0xE05CD000, 0x8017480D
.long 0xBF8C4F7C
.long 0xD3B24020, 0x18029920
.long 0xD3B24022, 0x18029D22
.long 0xD3B24024, 0x1802A124
.long 0xD3B24026, 0x1802A526
.long 0x81858105
.long 0xBF05CE05
.long 0xBF8504ED
.long 0x805C565C
.long 0x825D575D
.long 0xD0C60058, 0x00000A80
.long 0xD100000C, 0x01621706
.long 0xD100000D, 0x01621708
.long 0xE05CD000, 0x80174C0C
.long 0xE05CD000, 0x8017500D
.long 0xBF8C4F7C
.long 0xD3B24020, 0x1802A920
.long 0xD3B24022, 0x1802AD22
.long 0xD3B24024, 0x1802B124
.long 0xD3B24026, 0x1802B526
.long 0x81858105
.long 0xBF05CE05
.long 0xBF8504D5
.long 0x805C565C
.long 0x825D575D
.long 0xD0C60058, 0x00000A80
.long 0xD100000C, 0x01621706
.long 0xD100000D, 0x01621708
.long 0xE05CD000, 0x8017540C
.long 0xE05CD000, 0x8017580D
.long 0xBF8C4F7C
.long 0xD3B24020, 0x1802B920
.long 0xD3B24022, 0x1802BD22
.long 0xD3B24024, 0x1802C124
.long 0xD3B24026, 0x1802C526
.long 0x81858105
.long 0xBF05CE05
.long 0xBF8504BD
.long 0x805C565C
.long 0x825D575D
.long 0xD0C60058, 0x00000A80
.long 0xD100000C, 0x01621706
.long 0xD100000D, 0x01621708
.long 0xE05CD000, 0x80175C0C
.long 0xE05CD000, 0x8017600D
.long 0xBF8C4F7C
.long 0xD3B24020, 0x1802C920
.long 0xD3B24022, 0x1802CD22
.long 0xD3B24024, 0x1802D124
.long 0xD3B24026, 0x1802D526
.long 0x81858105
.long 0xBF05CE05
.long 0xBF8504A5
.long 0x805C565C
.long 0x825D575D
.long 0xD0C60058, 0x00000A80
.long 0xD100000C, 0x01621706
.long 0xD100000D, 0x01621708
.long 0xE05CD000, 0x8017640C
.long 0xE05CD000, 0x8017680D
.long 0xBF8C4F7C
.long 0xD3B24020, 0x1802D920
.long 0xD3B24022, 0x1802DD22
.long 0xD3B24024, 0x1802E124
.long 0xD3B24026, 0x1802E526
.long 0x81858105
.long 0xBF05CE05
.long 0xBF85048D
.long 0x805C565C
.long 0x825D575D
.long 0xD0C60058, 0x00000A80
.long 0xD100000C, 0x01621706
.long 0xD100000D, 0x01621708
.long 0xE05CD000, 0x80176C0C
.long 0xE05CD000, 0x8017700D
.long 0xBF8C4F7C
.long 0xD3B24020, 0x1802E920
.long 0xD3B24022, 0x1802ED22
.long 0xD3B24024, 0x1802F124
.long 0xD3B24026, 0x1802F526
.long 0x81858105
.long 0xBF05CE05
.long 0xBF850475
.long 0x805C565C
.long 0x825D575D
.long 0xD0C60058, 0x00000A80
.long 0xD100000C, 0x01621706
.long 0xD100000D, 0x01621708
.long 0xE05CD000, 0x8017740C
.long 0xE05CD000, 0x8017780D
.long 0xBF8C4F7C
.long 0xD3B24020, 0x1802F920
.long 0xD3B24022, 0x1802FD22
.long 0xD3B24024, 0x18030124
.long 0xD3B24026, 0x18030526
.long 0x81858105
.long 0xBF05CE05
.long 0xBF85045D
.long 0x805C565C
.long 0x825D575D
.long 0xD0C60058, 0x00000A80
.long 0xD100000C, 0x01621706
.long 0xD100000D, 0x01621708
.long 0xE05CD000, 0x80177C0C
.long 0xE05CD000, 0x8017800D
.long 0xBF8C4F7C
.long 0xD3B24020, 0x18030920
.long 0xD3B24022, 0x18030D22
.long 0xD3B24024, 0x18031124
.long 0xD3B24026, 0x18031526
.long 0x81858105
.long 0xBF05CE05
.long 0xBF850445
.long 0x805C565C
.long 0x825D575D
.long 0xD0C60058, 0x00000A80
.long 0xD100000C, 0x01621706
.long 0xD100000D, 0x01621708
.long 0xE05CD000, 0x8017840C
.long 0xE05CD000, 0x8017880D
.long 0xBF8C4F7C
.long 0xD3B24020, 0x18031920
.long 0xD3B24022, 0x18031D22
.long 0xD3B24024, 0x18032124
.long 0xD3B24026, 0x18032526
.long 0x81858105
.long 0xBF05CE05
.long 0xBF85042D
.long 0x805C565C
.long 0x825D575D
.long 0xD0C60058, 0x00000A80
.long 0xD100000C, 0x01621706
.long 0xD100000D, 0x01621708
.long 0xE05CD000, 0x80178C0C
.long 0xE05CD000, 0x8017900D
.long 0xBF8C4F7C
.long 0xD3B24020, 0x18032920
.long 0xD3B24022, 0x18032D22
.long 0xD3B24024, 0x18033124
.long 0xD3B24026, 0x18033526
.long 0x81858105
.long 0xBF05CE05
.long 0xBF850415
.long 0x805C565C
.long 0x825D575D
.long 0xD0C60058, 0x00000A80
.long 0xD100000C, 0x01621706
.long 0xD100000D, 0x01621708
.long 0xE05CD000, 0x8017940C
.long 0xE05CD000, 0x8017980D
.long 0xBF8C4F7C
.long 0xD3B24020, 0x18033920
.long 0xD3B24022, 0x18033D22
.long 0xD3B24024, 0x18034124
.long 0xD3B24026, 0x18034526
.long 0x81858105
.long 0xBF05CE05
.long 0xBF8503FD
.long 0x805C565C
.long 0x825D575D
.long 0xD0C60058, 0x00000A80
.long 0xD100000C, 0x01621706
.long 0xD100000D, 0x01621708
.long 0xE05CD000, 0x80179C0C
.long 0xE05CD000, 0x8017A00D
.long 0xBF8C4F7C
.long 0xD3B24020, 0x18034920
.long 0xD3B24022, 0x18034D22
.long 0xD3B24024, 0x18035124
.long 0xD3B24026, 0x18035526
.long 0x81858105
.long 0xBF05CE05
.long 0xBF8503E5
.long 0x805C565C
.long 0x825D575D
.long 0xD0C60058, 0x00000A80
.long 0xD100000C, 0x01621706
.long 0xD100000D, 0x01621708
.long 0xE05CD000, 0x8017A40C
.long 0xE05CD000, 0x8017A80D
.long 0xBF8C4F7C
.long 0xD3B24020, 0x18035920
.long 0xD3B24022, 0x18035D22
.long 0xD3B24024, 0x18036124
.long 0xD3B24026, 0x18036526
.long 0x81858105
.long 0xBF05CE05
.long 0xBF8503CD
.long 0x805C565C
.long 0x825D575D
.long 0xD0C60058, 0x00000A80
.long 0xD100000C, 0x01621706
.long 0xD100000D, 0x01621708
.long 0xE05CD000, 0x8017AC0C
.long 0xE05CD000, 0x8017B00D
.long 0xBF02CE05
.long 0xBF85FE96
	;; [unrolled: 1-line block ×3, first 2 shown]
.long 0xD3B24020, 0x18027920
.long 0xD3B24022, 0x18027D22
.long 0xD3B24024, 0x18028124
.long 0xD3B24026, 0x18028526
.long 0xBF8C4F78
.long 0xD3B24020, 0x18028920
.long 0xD3B24022, 0x18028D22
.long 0xD3B24024, 0x18029124
.long 0xD3B24026, 0x18029526
.long 0xBF8C4F76
	;; [unrolled: 5-line block ×14, first 2 shown]
.long 0xBF8C4F78
.long 0xD3B24020, 0x18027920
.long 0xD3B24022, 0x18027D22
.long 0xD3B24024, 0x18028124
.long 0xD3B24026, 0x18028526
.long 0xBF8C4F76
.long 0xD3B24020, 0x18028920
.long 0xD3B24022, 0x18028D22
.long 0xD3B24024, 0x18029124
.long 0xD3B24026, 0x18029526
	;; [unrolled: 5-line block ×13, first 2 shown]
.long 0xBF8202CA
.long 0xBF8C4F76
.long 0xD3B24020, 0x18027920
.long 0xD3B24022, 0x18027D22
.long 0xD3B24024, 0x18028124
.long 0xD3B24026, 0x18028526
.long 0xBF8C4F74
.long 0xD3B24020, 0x18028920
.long 0xD3B24022, 0x18028D22
.long 0xD3B24024, 0x18029124
.long 0xD3B24026, 0x18029526
	;; [unrolled: 5-line block ×12, first 2 shown]
.long 0xBF82025D
.long 0xBF8C4F74
.long 0xD3B24020, 0x18027920
.long 0xD3B24022, 0x18027D22
.long 0xD3B24024, 0x18028124
.long 0xD3B24026, 0x18028526
.long 0xBF8C4F72
.long 0xD3B24020, 0x18028920
.long 0xD3B24022, 0x18028D22
.long 0xD3B24024, 0x18029124
.long 0xD3B24026, 0x18029526
	;; [unrolled: 5-line block ×11, first 2 shown]
.long 0xBF8201F9
.long 0xBF8C4F72
.long 0xD3B24020, 0x18027920
.long 0xD3B24022, 0x18027D22
.long 0xD3B24024, 0x18028124
.long 0xD3B24026, 0x18028526
.long 0xBF8C4F70
.long 0xD3B24020, 0x18028920
.long 0xD3B24022, 0x18028D22
.long 0xD3B24024, 0x18029124
.long 0xD3B24026, 0x18029526
	;; [unrolled: 5-line block ×10, first 2 shown]
.long 0xBF82019E
.long 0xBF8C4F70
.long 0xD3B24020, 0x18027920
.long 0xD3B24022, 0x18027D22
.long 0xD3B24024, 0x18028124
.long 0xD3B24026, 0x18028526
.long 0xBF8C0F7E
.long 0xD3B24020, 0x18028920
.long 0xD3B24022, 0x18028D22
.long 0xD3B24024, 0x18029124
.long 0xD3B24026, 0x18029526
	;; [unrolled: 5-line block ×9, first 2 shown]
.long 0xBF82014C
.long 0xBF8C0F7E
.long 0xD3B24020, 0x18027920
.long 0xD3B24022, 0x18027D22
.long 0xD3B24024, 0x18028124
.long 0xD3B24026, 0x18028526
.long 0xBF8C0F7C
.long 0xD3B24020, 0x18028920
.long 0xD3B24022, 0x18028D22
.long 0xD3B24024, 0x18029124
.long 0xD3B24026, 0x18029526
	;; [unrolled: 5-line block ×8, first 2 shown]
.long 0xBF820103
.long 0xBF8C0F7C
.long 0xD3B24020, 0x18027920
.long 0xD3B24022, 0x18027D22
.long 0xD3B24024, 0x18028124
.long 0xD3B24026, 0x18028526
.long 0xBF8C0F7A
.long 0xD3B24020, 0x18028920
.long 0xD3B24022, 0x18028D22
.long 0xD3B24024, 0x18029124
.long 0xD3B24026, 0x18029526
	;; [unrolled: 5-line block ×7, first 2 shown]
.long 0xBF8200C3
.long 0xBF8C0F7A
.long 0xD3B24020, 0x18027920
.long 0xD3B24022, 0x18027D22
.long 0xD3B24024, 0x18028124
.long 0xD3B24026, 0x18028526
.long 0xBF8C0F78
.long 0xD3B24020, 0x18028920
.long 0xD3B24022, 0x18028D22
.long 0xD3B24024, 0x18029124
.long 0xD3B24026, 0x18029526
	;; [unrolled: 5-line block ×6, first 2 shown]
.long 0xBF82008C
.long 0xBF8C0F78
.long 0xD3B24020, 0x18027920
.long 0xD3B24022, 0x18027D22
.long 0xD3B24024, 0x18028124
.long 0xD3B24026, 0x18028526
.long 0xBF8C0F76
.long 0xD3B24020, 0x18028920
.long 0xD3B24022, 0x18028D22
.long 0xD3B24024, 0x18029124
.long 0xD3B24026, 0x18029526
	;; [unrolled: 5-line block ×5, first 2 shown]
.long 0xBF82005E
.long 0xBF8C0F76
.long 0xD3B24020, 0x18027920
.long 0xD3B24022, 0x18027D22
.long 0xD3B24024, 0x18028124
.long 0xD3B24026, 0x18028526
.long 0xBF8C0F74
.long 0xD3B24020, 0x18028920
.long 0xD3B24022, 0x18028D22
.long 0xD3B24024, 0x18029124
.long 0xD3B24026, 0x18029526
	;; [unrolled: 5-line block ×4, first 2 shown]
.long 0xBF820039
.long 0xBF8C0F74
.long 0xD3B24020, 0x18027920
.long 0xD3B24022, 0x18027D22
.long 0xD3B24024, 0x18028124
.long 0xD3B24026, 0x18028526
.long 0xBF8C0F72
.long 0xD3B24020, 0x18028920
.long 0xD3B24022, 0x18028D22
.long 0xD3B24024, 0x18029124
.long 0xD3B24026, 0x18029526
	;; [unrolled: 5-line block ×3, first 2 shown]
.long 0xBF82001D
.long 0xBF8C0F72
.long 0xD3B24020, 0x18027920
.long 0xD3B24022, 0x18027D22
	;; [unrolled: 1-line block ×4, first 2 shown]
.long 0xBF8C0F70
.long 0xD3B24020, 0x18028920
.long 0xD3B24022, 0x18028D22
	;; [unrolled: 1-line block ×4, first 2 shown]
.long 0xBF82000A
.long 0xBF8C0F70
.long 0xD3B24020, 0x18027920
.long 0xD3B24022, 0x18027D22
.long 0xD3B24024, 0x18028124
.long 0xD3B24026, 0x18028526
.long 0xBF820000
.long 0x0A404030
.long 0x0A424230
.long 0x0A444430
.long 0x0A464630
.long 0x0A484830
.long 0x0A4A4A30
.long 0x0A4C4C30
.long 0x0A4E4E30
.long 0xD0CC0038, 0x0001004A
.long 0xD1000018, 0x00E230F2
	;; [unrolled: 1-line block ×28, first 2 shown]
.long 0x7E401520
.long 0x7E421521
.long 0xD2A00020, 0x00024320
.long 0x7E441522
.long 0x7E461523
.long 0xD2A00021, 0x00024722
.long 0xE074D000, 0x80142007
	;; [unrolled: 1-line block ×3, first 2 shown]
.long 0x680E0F08
.long 0x7E481524
	;; [unrolled: 1-line block ×3, first 2 shown]
.long 0xD2A00022, 0x00024B24
.long 0x7E4C1526
.long 0x7E4E1527
.long 0xD2A00023, 0x00024F26
.long 0xE074D000, 0x80142207
.long 0xBF800000
.long 0xBF800000
	;; [unrolled: 1-line block ×3, first 2 shown]
.long 0xD1FE0006, 0x020A0103
.long 0xD1FE0007, 0x02060103
	;; [unrolled: 1-line block ×10, first 2 shown]
.long 0xBF800001
.long 0xE07CD000, 0x80032006
.long 0xE07CD010, 0x80032406
.long 0xBF800000
.long 0x92541415
	;; [unrolled: 1-line block ×16, first 2 shown]
.long 0xC2330CCC, 0x00000000
.long 0x965B811C
.long 0x925A811C
	;; [unrolled: 1-line block ×15, first 2 shown]
.long 0x7E1602FF, 0x80000000
.long 0xBEDC0016
.long 0xBEDD0017
	;; [unrolled: 1-line block ×9, first 2 shown]
.long 0xD2850001, 0x00020290
.long 0x260ACCBF
.long 0x200A0A83
	;; [unrolled: 1-line block ×3, first 2 shown]
.long 0xD2850002, 0x00005501
.long 0xD2850003, 0x00005101
.long 0x260A0883
.long 0xD2850005, 0x00020AA0
.long 0x2600CC87
.long 0x24000082
	;; [unrolled: 1-line block ×3, first 2 shown]
.long 0x923302FF, 0x00000080
.long 0x68000033
.long 0x92330390
	;; [unrolled: 1-line block ×3, first 2 shown]
.long 0xD1FE0006, 0x020A0103
.long 0xD1FE0007, 0x02060103
	;; [unrolled: 1-line block ×3, first 2 shown]
.long 0x68100D08
.long 0x924202FF, 0x00000080
.long 0xD1350009, 0x00008500
.long 0x24121282
.long 0xBF8CC07F
	;; [unrolled: 1-line block ×3, first 2 shown]
.long 0xD9FE0000, 0x10000009
.long 0xD9FE0000, 0x14000009
.long 0x24140082
.long 0xE05C1000, 0x8012180A
.long 0xE05C1000, 0x80121C0A
	;; [unrolled: 1-line block ×4, first 2 shown]
.long 0xBE850032
.long 0x81858105
	;; [unrolled: 1-line block ×6, first 2 shown]
.long 0xE05CD000, 0x80173C06
.long 0xE05CD000, 0x80174008
.long 0x81858105
.long 0x805C565C
.long 0x825D575D
.long 0xBF008005
.long 0xBF850598
.long 0xE05CD000, 0x80174406
.long 0xE05CD000, 0x80174808
.long 0x81858105
.long 0x805C565C
.long 0x825D575D
.long 0xBF008005
.long 0xBF85057C
.long 0xE05CD000, 0x80174C06
.long 0xE05CD000, 0x80175008
.long 0x81858105
.long 0x805C565C
.long 0x825D575D
.long 0xBF008005
.long 0xBF850557
.long 0xE05CD000, 0x80175406
.long 0xE05CD000, 0x80175808
.long 0x81858105
.long 0x805C565C
.long 0x825D575D
.long 0xBF008005
.long 0xBF850529
.long 0xE05CD000, 0x80175C06
.long 0xE05CD000, 0x80176008
.long 0x81858105
.long 0x805C565C
.long 0x825D575D
.long 0xBF008005
.long 0xBF8504F2
.long 0xE05CD000, 0x80176406
.long 0xE05CD000, 0x80176808
.long 0x81858105
.long 0x805C565C
.long 0x825D575D
.long 0xBF008005
.long 0xBF8504B2
.long 0xE05CD000, 0x80176C06
.long 0xE05CD000, 0x80177008
.long 0x81858105
.long 0x805C565C
.long 0x825D575D
.long 0xBF008005
.long 0xBF850469
.long 0xE05CD000, 0x80177406
.long 0xE05CD000, 0x80177808
.long 0x81858105
.long 0x805C565C
.long 0x825D575D
.long 0xBF008005
.long 0xBF850417
.long 0xE05CD000, 0x80177C06
.long 0xE05CD000, 0x80178008
.long 0x81858105
.long 0x805C565C
.long 0x825D575D
.long 0xBF008005
.long 0xBF8503BC
.long 0xE05CD000, 0x80178406
.long 0xE05CD000, 0x80178808
.long 0x81858105
.long 0x805C565C
.long 0x825D575D
.long 0xBF008005
.long 0xBF850358
.long 0xE05CD000, 0x80178C06
.long 0xE05CD000, 0x80179008
.long 0x81858105
.long 0x805C565C
.long 0x825D575D
.long 0xBF008005
.long 0xBF8502EB
.long 0xE05CD000, 0x80179406
.long 0xE05CD000, 0x80179808
.long 0x81858105
.long 0x805C565C
.long 0x825D575D
.long 0xBF008005
.long 0xBF850275
.long 0xE05CD000, 0x80179C06
.long 0xE05CD000, 0x8017A008
.long 0x81858105
.long 0x805C565C
.long 0x825D575D
.long 0xBF008005
.long 0xBF8501F6
.long 0xE05CD000, 0x8017A406
.long 0xE05CD000, 0x8017A808
.long 0x81858105
.long 0x805C565C
.long 0x825D575D
.long 0xBF008005
.long 0xBF85016E
.long 0xE05CD000, 0x8017AC06
.long 0xE05CD000, 0x8017B008
.long 0xBF8C4F7C
.long 0xD3B24020, 0x18027920
.long 0xD3B24022, 0x18027D22
.long 0xD3B24024, 0x18028124
.long 0xD3B24026, 0x18028526
.long 0x81858105
.long 0xBF05CE05
.long 0xBF85051D
.long 0x805C565C
.long 0x825D575D
.long 0xD0C60058, 0x00000A80
.long 0xD100000C, 0x01621706
.long 0xD100000D, 0x01621708
.long 0xE05CD000, 0x80173C0C
.long 0xE05CD000, 0x8017400D
.long 0xBF8C4F7C
.long 0xD3B24020, 0x18028920
.long 0xD3B24022, 0x18028D22
.long 0xD3B24024, 0x18029124
.long 0xD3B24026, 0x18029526
.long 0x81858105
.long 0xBF05CE05
.long 0xBF850505
.long 0x805C565C
.long 0x825D575D
.long 0xD0C60058, 0x00000A80
.long 0xD100000C, 0x01621706
.long 0xD100000D, 0x01621708
	;; [unrolled: 15-line block ×15, first 2 shown]
.long 0xE05CD000, 0x8017AC0C
.long 0xE05CD000, 0x8017B00D
.long 0xBF02CE05
.long 0xBF85FE96
	;; [unrolled: 1-line block ×3, first 2 shown]
.long 0xD3B24020, 0x18027920
.long 0xD3B24022, 0x18027D22
.long 0xD3B24024, 0x18028124
.long 0xD3B24026, 0x18028526
.long 0xBF8C4F78
.long 0xD3B24020, 0x18028920
.long 0xD3B24022, 0x18028D22
.long 0xD3B24024, 0x18029124
.long 0xD3B24026, 0x18029526
.long 0xBF8C4F76
	;; [unrolled: 5-line block ×14, first 2 shown]
.long 0xBF8C4F78
.long 0xD3B24020, 0x18027920
.long 0xD3B24022, 0x18027D22
.long 0xD3B24024, 0x18028124
.long 0xD3B24026, 0x18028526
.long 0xBF8C4F76
.long 0xD3B24020, 0x18028920
.long 0xD3B24022, 0x18028D22
.long 0xD3B24024, 0x18029124
.long 0xD3B24026, 0x18029526
	;; [unrolled: 5-line block ×13, first 2 shown]
.long 0xBF8202CA
.long 0xBF8C4F76
.long 0xD3B24020, 0x18027920
.long 0xD3B24022, 0x18027D22
.long 0xD3B24024, 0x18028124
.long 0xD3B24026, 0x18028526
.long 0xBF8C4F74
.long 0xD3B24020, 0x18028920
.long 0xD3B24022, 0x18028D22
.long 0xD3B24024, 0x18029124
.long 0xD3B24026, 0x18029526
	;; [unrolled: 5-line block ×12, first 2 shown]
.long 0xBF82025D
.long 0xBF8C4F74
.long 0xD3B24020, 0x18027920
.long 0xD3B24022, 0x18027D22
.long 0xD3B24024, 0x18028124
.long 0xD3B24026, 0x18028526
.long 0xBF8C4F72
.long 0xD3B24020, 0x18028920
.long 0xD3B24022, 0x18028D22
.long 0xD3B24024, 0x18029124
.long 0xD3B24026, 0x18029526
	;; [unrolled: 5-line block ×11, first 2 shown]
.long 0xBF8201F9
.long 0xBF8C4F72
.long 0xD3B24020, 0x18027920
.long 0xD3B24022, 0x18027D22
.long 0xD3B24024, 0x18028124
.long 0xD3B24026, 0x18028526
.long 0xBF8C4F70
.long 0xD3B24020, 0x18028920
.long 0xD3B24022, 0x18028D22
.long 0xD3B24024, 0x18029124
.long 0xD3B24026, 0x18029526
	;; [unrolled: 5-line block ×10, first 2 shown]
.long 0xBF82019E
.long 0xBF8C4F70
.long 0xD3B24020, 0x18027920
.long 0xD3B24022, 0x18027D22
.long 0xD3B24024, 0x18028124
.long 0xD3B24026, 0x18028526
.long 0xBF8C0F7E
.long 0xD3B24020, 0x18028920
.long 0xD3B24022, 0x18028D22
.long 0xD3B24024, 0x18029124
.long 0xD3B24026, 0x18029526
	;; [unrolled: 5-line block ×9, first 2 shown]
.long 0xBF82014C
.long 0xBF8C0F7E
.long 0xD3B24020, 0x18027920
.long 0xD3B24022, 0x18027D22
.long 0xD3B24024, 0x18028124
.long 0xD3B24026, 0x18028526
.long 0xBF8C0F7C
.long 0xD3B24020, 0x18028920
.long 0xD3B24022, 0x18028D22
.long 0xD3B24024, 0x18029124
.long 0xD3B24026, 0x18029526
	;; [unrolled: 5-line block ×8, first 2 shown]
.long 0xBF820103
.long 0xBF8C0F7C
.long 0xD3B24020, 0x18027920
.long 0xD3B24022, 0x18027D22
.long 0xD3B24024, 0x18028124
.long 0xD3B24026, 0x18028526
.long 0xBF8C0F7A
.long 0xD3B24020, 0x18028920
.long 0xD3B24022, 0x18028D22
.long 0xD3B24024, 0x18029124
.long 0xD3B24026, 0x18029526
	;; [unrolled: 5-line block ×7, first 2 shown]
.long 0xBF8200C3
.long 0xBF8C0F7A
.long 0xD3B24020, 0x18027920
.long 0xD3B24022, 0x18027D22
.long 0xD3B24024, 0x18028124
.long 0xD3B24026, 0x18028526
.long 0xBF8C0F78
.long 0xD3B24020, 0x18028920
.long 0xD3B24022, 0x18028D22
.long 0xD3B24024, 0x18029124
.long 0xD3B24026, 0x18029526
.long 0xBF8C0F76
.long 0xD3B24020, 0x18029920
.long 0xD3B24022, 0x18029D22
.long 0xD3B24024, 0x1802A124
.long 0xD3B24026, 0x1802A526
.long 0xBF8C0F74
.long 0xD3B24020, 0x1802A920
.long 0xD3B24022, 0x1802AD22
.long 0xD3B24024, 0x1802B124
.long 0xD3B24026, 0x1802B526
.long 0xBF8C0F72
.long 0xD3B24020, 0x1802B920
.long 0xD3B24022, 0x1802BD22
.long 0xD3B24024, 0x1802C124
.long 0xD3B24026, 0x1802C526
.long 0xBF8C0F70
.long 0xD3B24020, 0x1802C920
.long 0xD3B24022, 0x1802CD22
.long 0xD3B24024, 0x1802D124
.long 0xD3B24026, 0x1802D526
.long 0xBF82008C
.long 0xBF8C0F78
.long 0xD3B24020, 0x18027920
.long 0xD3B24022, 0x18027D22
.long 0xD3B24024, 0x18028124
.long 0xD3B24026, 0x18028526
.long 0xBF8C0F76
.long 0xD3B24020, 0x18028920
.long 0xD3B24022, 0x18028D22
.long 0xD3B24024, 0x18029124
.long 0xD3B24026, 0x18029526
	;; [unrolled: 5-line block ×5, first 2 shown]
.long 0xBF82005E
.long 0xBF8C0F76
.long 0xD3B24020, 0x18027920
.long 0xD3B24022, 0x18027D22
.long 0xD3B24024, 0x18028124
.long 0xD3B24026, 0x18028526
.long 0xBF8C0F74
.long 0xD3B24020, 0x18028920
.long 0xD3B24022, 0x18028D22
.long 0xD3B24024, 0x18029124
.long 0xD3B24026, 0x18029526
	;; [unrolled: 5-line block ×4, first 2 shown]
.long 0xBF820039
.long 0xBF8C0F74
.long 0xD3B24020, 0x18027920
.long 0xD3B24022, 0x18027D22
.long 0xD3B24024, 0x18028124
.long 0xD3B24026, 0x18028526
.long 0xBF8C0F72
.long 0xD3B24020, 0x18028920
.long 0xD3B24022, 0x18028D22
.long 0xD3B24024, 0x18029124
.long 0xD3B24026, 0x18029526
	;; [unrolled: 5-line block ×3, first 2 shown]
.long 0xBF82001D
.long 0xBF8C0F72
.long 0xD3B24020, 0x18027920
.long 0xD3B24022, 0x18027D22
	;; [unrolled: 1-line block ×4, first 2 shown]
.long 0xBF8C0F70
.long 0xD3B24020, 0x18028920
.long 0xD3B24022, 0x18028D22
	;; [unrolled: 1-line block ×4, first 2 shown]
.long 0xBF82000A
.long 0xBF8C0F70
.long 0xD3B24020, 0x18027920
.long 0xD3B24022, 0x18027D22
.long 0xD3B24024, 0x18028124
.long 0xD3B24026, 0x18028526
.long 0xBF820000
.long 0x0A404030
	;; [unrolled: 1-line block ×9, first 2 shown]
.long 0xD0CC0038, 0x0001004A
.long 0xD1000018, 0x00E230F2
	;; [unrolled: 1-line block ×21, first 2 shown]
.long 0x1440403F
.long 0x00404080
.long 0xD044006A, 0x00007D21
.long 0x1442423F
.long 0x00424280
.long 0xD044006A, 0x00007D22
	;; [unrolled: 3-line block ×7, first 2 shown]
.long 0x144E4E3F
.long 0x004E4E80
	;; [unrolled: 1-line block ×4, first 2 shown]
.long 0xD2A00020, 0x00024320
.long 0x7E441522
.long 0x7E461523
.long 0xD2A00021, 0x00024722
.long 0xE074D000, 0x80142007
	;; [unrolled: 1-line block ×3, first 2 shown]
.long 0x680E0F08
.long 0x7E481524
	;; [unrolled: 1-line block ×3, first 2 shown]
.long 0xD2A00022, 0x00024B24
.long 0x7E4C1526
.long 0x7E4E1527
.long 0xD2A00023, 0x00024F26
.long 0xE074D000, 0x80142207
.long 0xBF800000
.long 0xBF800000
	;; [unrolled: 1-line block ×3, first 2 shown]
.long 0xD1FE0006, 0x020A0103
.long 0xD1FE0007, 0x02060103
	;; [unrolled: 1-line block ×10, first 2 shown]
.long 0xBF800001
.long 0xE07CD000, 0x80032006
.long 0xE07CD010, 0x80032406
.long 0xBF800000
.long 0x92541415
	;; [unrolled: 1-line block ×16, first 2 shown]
.long 0xC2330CCC, 0x00000000
.long 0x965B811C
.long 0x925A811C
	;; [unrolled: 1-line block ×15, first 2 shown]
.long 0x7E1602FF, 0x80000000
.long 0xBEDC0016
.long 0xBEDD0017
.long 0xBEDE000E
.long 0xBEDF000F
.long 0xBF8CC07F
.long 0xBF068133
.long 0xBF8406AA
.long 0x2008CC86
.long 0x20020882
.long 0xD2850001, 0x00020290
.long 0x260ACCBF
.long 0x200A0A83
	;; [unrolled: 1-line block ×3, first 2 shown]
.long 0xD2850002, 0x00005501
.long 0xD2850003, 0x00005101
.long 0x260A0883
.long 0xD2850005, 0x00020AA0
.long 0x2600CC87
.long 0x24000082
	;; [unrolled: 1-line block ×3, first 2 shown]
.long 0x923302FF, 0x00000080
.long 0x68000033
.long 0x92330390
	;; [unrolled: 1-line block ×3, first 2 shown]
.long 0xD1FE0006, 0x020A0103
.long 0xD1FE0007, 0x02060103
	;; [unrolled: 1-line block ×3, first 2 shown]
.long 0x68100D08
.long 0x924202FF, 0x00000080
.long 0xD1350009, 0x00008500
.long 0x24121282
.long 0xBF8CC07F
	;; [unrolled: 1-line block ×3, first 2 shown]
.long 0xD9FE0000, 0x10000009
.long 0xD9FE0000, 0x14000009
.long 0x24140082
.long 0xE05C1000, 0x8012180A
.long 0xE05C1000, 0x80121C0A
	;; [unrolled: 1-line block ×4, first 2 shown]
.long 0xBE850032
.long 0x81858105
	;; [unrolled: 1-line block ×6, first 2 shown]
.long 0xE05CD000, 0x80173C06
.long 0xE05CD000, 0x80174008
.long 0x81858105
.long 0x805C565C
.long 0x825D575D
.long 0xBF008005
.long 0xBF850598
.long 0xE05CD000, 0x80174406
.long 0xE05CD000, 0x80174808
.long 0x81858105
.long 0x805C565C
.long 0x825D575D
.long 0xBF008005
.long 0xBF85057C
	;; [unrolled: 7-line block ×14, first 2 shown]
.long 0xE05CD000, 0x8017AC06
.long 0xE05CD000, 0x8017B008
.long 0xBF8C4F7C
.long 0xD3B24020, 0x18027920
.long 0xD3B24022, 0x18027D22
.long 0xD3B24024, 0x18028124
.long 0xD3B24026, 0x18028526
.long 0x81858105
.long 0xBF05CE05
.long 0xBF85051D
.long 0x805C565C
.long 0x825D575D
.long 0xD0C60058, 0x00000A80
.long 0xD100000C, 0x01621706
.long 0xD100000D, 0x01621708
.long 0xE05CD000, 0x80173C0C
.long 0xE05CD000, 0x8017400D
.long 0xBF8C4F7C
.long 0xD3B24020, 0x18028920
.long 0xD3B24022, 0x18028D22
.long 0xD3B24024, 0x18029124
.long 0xD3B24026, 0x18029526
.long 0x81858105
.long 0xBF05CE05
.long 0xBF850505
.long 0x805C565C
.long 0x825D575D
.long 0xD0C60058, 0x00000A80
.long 0xD100000C, 0x01621706
.long 0xD100000D, 0x01621708
.long 0xE05CD000, 0x8017440C
.long 0xE05CD000, 0x8017480D
.long 0xBF8C4F7C
.long 0xD3B24020, 0x18029920
.long 0xD3B24022, 0x18029D22
.long 0xD3B24024, 0x1802A124
.long 0xD3B24026, 0x1802A526
.long 0x81858105
.long 0xBF05CE05
.long 0xBF8504ED
.long 0x805C565C
.long 0x825D575D
.long 0xD0C60058, 0x00000A80
.long 0xD100000C, 0x01621706
.long 0xD100000D, 0x01621708
.long 0xE05CD000, 0x80174C0C
.long 0xE05CD000, 0x8017500D
.long 0xBF8C4F7C
.long 0xD3B24020, 0x1802A920
.long 0xD3B24022, 0x1802AD22
.long 0xD3B24024, 0x1802B124
.long 0xD3B24026, 0x1802B526
.long 0x81858105
.long 0xBF05CE05
.long 0xBF8504D5
.long 0x805C565C
.long 0x825D575D
.long 0xD0C60058, 0x00000A80
.long 0xD100000C, 0x01621706
.long 0xD100000D, 0x01621708
.long 0xE05CD000, 0x8017540C
.long 0xE05CD000, 0x8017580D
.long 0xBF8C4F7C
.long 0xD3B24020, 0x1802B920
.long 0xD3B24022, 0x1802BD22
.long 0xD3B24024, 0x1802C124
.long 0xD3B24026, 0x1802C526
.long 0x81858105
.long 0xBF05CE05
.long 0xBF8504BD
.long 0x805C565C
.long 0x825D575D
.long 0xD0C60058, 0x00000A80
.long 0xD100000C, 0x01621706
.long 0xD100000D, 0x01621708
.long 0xE05CD000, 0x80175C0C
.long 0xE05CD000, 0x8017600D
.long 0xBF8C4F7C
.long 0xD3B24020, 0x1802C920
.long 0xD3B24022, 0x1802CD22
.long 0xD3B24024, 0x1802D124
.long 0xD3B24026, 0x1802D526
.long 0x81858105
.long 0xBF05CE05
.long 0xBF8504A5
.long 0x805C565C
.long 0x825D575D
.long 0xD0C60058, 0x00000A80
.long 0xD100000C, 0x01621706
.long 0xD100000D, 0x01621708
.long 0xE05CD000, 0x8017640C
.long 0xE05CD000, 0x8017680D
.long 0xBF8C4F7C
.long 0xD3B24020, 0x1802D920
.long 0xD3B24022, 0x1802DD22
.long 0xD3B24024, 0x1802E124
.long 0xD3B24026, 0x1802E526
.long 0x81858105
.long 0xBF05CE05
.long 0xBF85048D
.long 0x805C565C
.long 0x825D575D
.long 0xD0C60058, 0x00000A80
.long 0xD100000C, 0x01621706
.long 0xD100000D, 0x01621708
.long 0xE05CD000, 0x80176C0C
.long 0xE05CD000, 0x8017700D
.long 0xBF8C4F7C
.long 0xD3B24020, 0x1802E920
.long 0xD3B24022, 0x1802ED22
.long 0xD3B24024, 0x1802F124
.long 0xD3B24026, 0x1802F526
.long 0x81858105
.long 0xBF05CE05
.long 0xBF850475
.long 0x805C565C
.long 0x825D575D
.long 0xD0C60058, 0x00000A80
.long 0xD100000C, 0x01621706
.long 0xD100000D, 0x01621708
.long 0xE05CD000, 0x8017740C
.long 0xE05CD000, 0x8017780D
.long 0xBF8C4F7C
.long 0xD3B24020, 0x1802F920
.long 0xD3B24022, 0x1802FD22
.long 0xD3B24024, 0x18030124
.long 0xD3B24026, 0x18030526
.long 0x81858105
.long 0xBF05CE05
.long 0xBF85045D
.long 0x805C565C
.long 0x825D575D
.long 0xD0C60058, 0x00000A80
.long 0xD100000C, 0x01621706
.long 0xD100000D, 0x01621708
.long 0xE05CD000, 0x80177C0C
.long 0xE05CD000, 0x8017800D
.long 0xBF8C4F7C
.long 0xD3B24020, 0x18030920
.long 0xD3B24022, 0x18030D22
.long 0xD3B24024, 0x18031124
.long 0xD3B24026, 0x18031526
.long 0x81858105
.long 0xBF05CE05
.long 0xBF850445
.long 0x805C565C
.long 0x825D575D
.long 0xD0C60058, 0x00000A80
.long 0xD100000C, 0x01621706
.long 0xD100000D, 0x01621708
.long 0xE05CD000, 0x8017840C
.long 0xE05CD000, 0x8017880D
.long 0xBF8C4F7C
.long 0xD3B24020, 0x18031920
.long 0xD3B24022, 0x18031D22
.long 0xD3B24024, 0x18032124
.long 0xD3B24026, 0x18032526
.long 0x81858105
.long 0xBF05CE05
.long 0xBF85042D
.long 0x805C565C
.long 0x825D575D
.long 0xD0C60058, 0x00000A80
.long 0xD100000C, 0x01621706
.long 0xD100000D, 0x01621708
.long 0xE05CD000, 0x80178C0C
.long 0xE05CD000, 0x8017900D
.long 0xBF8C4F7C
.long 0xD3B24020, 0x18032920
.long 0xD3B24022, 0x18032D22
.long 0xD3B24024, 0x18033124
.long 0xD3B24026, 0x18033526
.long 0x81858105
.long 0xBF05CE05
.long 0xBF850415
.long 0x805C565C
.long 0x825D575D
.long 0xD0C60058, 0x00000A80
.long 0xD100000C, 0x01621706
.long 0xD100000D, 0x01621708
.long 0xE05CD000, 0x8017940C
.long 0xE05CD000, 0x8017980D
.long 0xBF8C4F7C
.long 0xD3B24020, 0x18033920
.long 0xD3B24022, 0x18033D22
.long 0xD3B24024, 0x18034124
.long 0xD3B24026, 0x18034526
.long 0x81858105
.long 0xBF05CE05
.long 0xBF8503FD
.long 0x805C565C
.long 0x825D575D
.long 0xD0C60058, 0x00000A80
.long 0xD100000C, 0x01621706
.long 0xD100000D, 0x01621708
.long 0xE05CD000, 0x80179C0C
.long 0xE05CD000, 0x8017A00D
.long 0xBF8C4F7C
.long 0xD3B24020, 0x18034920
.long 0xD3B24022, 0x18034D22
.long 0xD3B24024, 0x18035124
.long 0xD3B24026, 0x18035526
.long 0x81858105
.long 0xBF05CE05
.long 0xBF8503E5
.long 0x805C565C
.long 0x825D575D
.long 0xD0C60058, 0x00000A80
.long 0xD100000C, 0x01621706
.long 0xD100000D, 0x01621708
.long 0xE05CD000, 0x8017A40C
.long 0xE05CD000, 0x8017A80D
.long 0xBF8C4F7C
.long 0xD3B24020, 0x18035920
.long 0xD3B24022, 0x18035D22
.long 0xD3B24024, 0x18036124
.long 0xD3B24026, 0x18036526
.long 0x81858105
.long 0xBF05CE05
.long 0xBF8503CD
.long 0x805C565C
.long 0x825D575D
.long 0xD0C60058, 0x00000A80
.long 0xD100000C, 0x01621706
.long 0xD100000D, 0x01621708
.long 0xE05CD000, 0x8017AC0C
.long 0xE05CD000, 0x8017B00D
.long 0xBF02CE05
.long 0xBF85FE96
	;; [unrolled: 1-line block ×3, first 2 shown]
.long 0xD3B24020, 0x18027920
.long 0xD3B24022, 0x18027D22
.long 0xD3B24024, 0x18028124
.long 0xD3B24026, 0x18028526
.long 0xBF8C4F78
.long 0xD3B24020, 0x18028920
.long 0xD3B24022, 0x18028D22
.long 0xD3B24024, 0x18029124
.long 0xD3B24026, 0x18029526
.long 0xBF8C4F76
	;; [unrolled: 5-line block ×14, first 2 shown]
.long 0xBF8C4F78
.long 0xD3B24020, 0x18027920
.long 0xD3B24022, 0x18027D22
.long 0xD3B24024, 0x18028124
.long 0xD3B24026, 0x18028526
.long 0xBF8C4F76
.long 0xD3B24020, 0x18028920
.long 0xD3B24022, 0x18028D22
.long 0xD3B24024, 0x18029124
.long 0xD3B24026, 0x18029526
	;; [unrolled: 5-line block ×13, first 2 shown]
.long 0xBF8202CA
.long 0xBF8C4F76
.long 0xD3B24020, 0x18027920
.long 0xD3B24022, 0x18027D22
.long 0xD3B24024, 0x18028124
.long 0xD3B24026, 0x18028526
.long 0xBF8C4F74
.long 0xD3B24020, 0x18028920
.long 0xD3B24022, 0x18028D22
.long 0xD3B24024, 0x18029124
.long 0xD3B24026, 0x18029526
	;; [unrolled: 5-line block ×12, first 2 shown]
.long 0xBF82025D
.long 0xBF8C4F74
.long 0xD3B24020, 0x18027920
.long 0xD3B24022, 0x18027D22
.long 0xD3B24024, 0x18028124
.long 0xD3B24026, 0x18028526
.long 0xBF8C4F72
.long 0xD3B24020, 0x18028920
.long 0xD3B24022, 0x18028D22
.long 0xD3B24024, 0x18029124
.long 0xD3B24026, 0x18029526
	;; [unrolled: 5-line block ×11, first 2 shown]
.long 0xBF8201F9
.long 0xBF8C4F72
.long 0xD3B24020, 0x18027920
.long 0xD3B24022, 0x18027D22
.long 0xD3B24024, 0x18028124
.long 0xD3B24026, 0x18028526
.long 0xBF8C4F70
.long 0xD3B24020, 0x18028920
.long 0xD3B24022, 0x18028D22
.long 0xD3B24024, 0x18029124
.long 0xD3B24026, 0x18029526
.long 0xBF8C0F7E
.long 0xD3B24020, 0x18029920
.long 0xD3B24022, 0x18029D22
.long 0xD3B24024, 0x1802A124
.long 0xD3B24026, 0x1802A526
.long 0xBF8C0F7C
.long 0xD3B24020, 0x1802A920
.long 0xD3B24022, 0x1802AD22
.long 0xD3B24024, 0x1802B124
.long 0xD3B24026, 0x1802B526
.long 0xBF8C0F7A
.long 0xD3B24020, 0x1802B920
.long 0xD3B24022, 0x1802BD22
.long 0xD3B24024, 0x1802C124
.long 0xD3B24026, 0x1802C526
.long 0xBF8C0F78
.long 0xD3B24020, 0x1802C920
.long 0xD3B24022, 0x1802CD22
.long 0xD3B24024, 0x1802D124
.long 0xD3B24026, 0x1802D526
.long 0xBF8C0F76
.long 0xD3B24020, 0x1802D920
.long 0xD3B24022, 0x1802DD22
.long 0xD3B24024, 0x1802E124
.long 0xD3B24026, 0x1802E526
.long 0xBF8C0F74
.long 0xD3B24020, 0x1802E920
.long 0xD3B24022, 0x1802ED22
.long 0xD3B24024, 0x1802F124
.long 0xD3B24026, 0x1802F526
.long 0xBF8C0F72
.long 0xD3B24020, 0x1802F920
.long 0xD3B24022, 0x1802FD22
.long 0xD3B24024, 0x18030124
.long 0xD3B24026, 0x18030526
.long 0xBF8C0F70
.long 0xD3B24020, 0x18030920
.long 0xD3B24022, 0x18030D22
.long 0xD3B24024, 0x18031124
.long 0xD3B24026, 0x18031526
.long 0xBF82019E
.long 0xBF8C4F70
.long 0xD3B24020, 0x18027920
.long 0xD3B24022, 0x18027D22
.long 0xD3B24024, 0x18028124
.long 0xD3B24026, 0x18028526
.long 0xBF8C0F7E
.long 0xD3B24020, 0x18028920
.long 0xD3B24022, 0x18028D22
.long 0xD3B24024, 0x18029124
.long 0xD3B24026, 0x18029526
	;; [unrolled: 5-line block ×9, first 2 shown]
.long 0xBF82014C
.long 0xBF8C0F7E
.long 0xD3B24020, 0x18027920
.long 0xD3B24022, 0x18027D22
.long 0xD3B24024, 0x18028124
.long 0xD3B24026, 0x18028526
.long 0xBF8C0F7C
.long 0xD3B24020, 0x18028920
.long 0xD3B24022, 0x18028D22
.long 0xD3B24024, 0x18029124
.long 0xD3B24026, 0x18029526
.long 0xBF8C0F7A
.long 0xD3B24020, 0x18029920
.long 0xD3B24022, 0x18029D22
.long 0xD3B24024, 0x1802A124
.long 0xD3B24026, 0x1802A526
.long 0xBF8C0F78
.long 0xD3B24020, 0x1802A920
.long 0xD3B24022, 0x1802AD22
.long 0xD3B24024, 0x1802B124
.long 0xD3B24026, 0x1802B526
.long 0xBF8C0F76
.long 0xD3B24020, 0x1802B920
.long 0xD3B24022, 0x1802BD22
.long 0xD3B24024, 0x1802C124
.long 0xD3B24026, 0x1802C526
.long 0xBF8C0F74
.long 0xD3B24020, 0x1802C920
.long 0xD3B24022, 0x1802CD22
.long 0xD3B24024, 0x1802D124
.long 0xD3B24026, 0x1802D526
.long 0xBF8C0F72
.long 0xD3B24020, 0x1802D920
.long 0xD3B24022, 0x1802DD22
.long 0xD3B24024, 0x1802E124
.long 0xD3B24026, 0x1802E526
.long 0xBF8C0F70
.long 0xD3B24020, 0x1802E920
.long 0xD3B24022, 0x1802ED22
.long 0xD3B24024, 0x1802F124
.long 0xD3B24026, 0x1802F526
.long 0xBF820103
.long 0xBF8C0F7C
.long 0xD3B24020, 0x18027920
.long 0xD3B24022, 0x18027D22
.long 0xD3B24024, 0x18028124
.long 0xD3B24026, 0x18028526
.long 0xBF8C0F7A
.long 0xD3B24020, 0x18028920
.long 0xD3B24022, 0x18028D22
.long 0xD3B24024, 0x18029124
.long 0xD3B24026, 0x18029526
	;; [unrolled: 5-line block ×7, first 2 shown]
.long 0xBF8200C3
.long 0xBF8C0F7A
.long 0xD3B24020, 0x18027920
.long 0xD3B24022, 0x18027D22
.long 0xD3B24024, 0x18028124
.long 0xD3B24026, 0x18028526
.long 0xBF8C0F78
.long 0xD3B24020, 0x18028920
.long 0xD3B24022, 0x18028D22
.long 0xD3B24024, 0x18029124
.long 0xD3B24026, 0x18029526
	;; [unrolled: 5-line block ×6, first 2 shown]
.long 0xBF82008C
.long 0xBF8C0F78
.long 0xD3B24020, 0x18027920
.long 0xD3B24022, 0x18027D22
.long 0xD3B24024, 0x18028124
.long 0xD3B24026, 0x18028526
.long 0xBF8C0F76
.long 0xD3B24020, 0x18028920
.long 0xD3B24022, 0x18028D22
.long 0xD3B24024, 0x18029124
.long 0xD3B24026, 0x18029526
	;; [unrolled: 5-line block ×5, first 2 shown]
.long 0xBF82005E
.long 0xBF8C0F76
.long 0xD3B24020, 0x18027920
.long 0xD3B24022, 0x18027D22
.long 0xD3B24024, 0x18028124
.long 0xD3B24026, 0x18028526
.long 0xBF8C0F74
.long 0xD3B24020, 0x18028920
.long 0xD3B24022, 0x18028D22
.long 0xD3B24024, 0x18029124
.long 0xD3B24026, 0x18029526
	;; [unrolled: 5-line block ×4, first 2 shown]
.long 0xBF820039
.long 0xBF8C0F74
.long 0xD3B24020, 0x18027920
.long 0xD3B24022, 0x18027D22
.long 0xD3B24024, 0x18028124
.long 0xD3B24026, 0x18028526
.long 0xBF8C0F72
.long 0xD3B24020, 0x18028920
.long 0xD3B24022, 0x18028D22
.long 0xD3B24024, 0x18029124
.long 0xD3B24026, 0x18029526
	;; [unrolled: 5-line block ×3, first 2 shown]
.long 0xBF82001D
.long 0xBF8C0F72
.long 0xD3B24020, 0x18027920
.long 0xD3B24022, 0x18027D22
	;; [unrolled: 1-line block ×4, first 2 shown]
.long 0xBF8C0F70
.long 0xD3B24020, 0x18028920
.long 0xD3B24022, 0x18028D22
.long 0xD3B24024, 0x18029124
.long 0xD3B24026, 0x18029526
.long 0xBF82000A
.long 0xBF8C0F70
.long 0xD3B24020, 0x18027920
.long 0xD3B24022, 0x18027D22
	;; [unrolled: 1-line block ×4, first 2 shown]
.long 0xBF820000
.long 0x0A404030
	;; [unrolled: 1-line block ×9, first 2 shown]
.long 0xD0CC0038, 0x0001004A
.long 0xD1000018, 0x00E230F2
.long 0xD1000019, 0x00E232F2
.long 0xD3B14020, 0x18024118
.long 0xD0CC0038, 0x0001004A
.long 0xD100001A, 0x00E234F2
.long 0xD100001B, 0x00E236F2
.long 0xD3B14022, 0x1802451A
.long 0xD0CC0038, 0x0001004A
.long 0xD100001C, 0x00E238F2
.long 0xD100001D, 0x00E23AF2
.long 0xD3B14024, 0x1802491C
.long 0xD0CC0038, 0x0001004A
.long 0xD100001E, 0x00E23CF2
.long 0xD100001F, 0x00E23EF2
.long 0xD3B14026, 0x18024D1E
.long 0xD3B24020, 0x18024110
.long 0xD3B24022, 0x18024512
.long 0xD3B24024, 0x18024914
.long 0xD3B24026, 0x18024D16
.long 0x0A0840FF, 0x3D372713
.long 0xD1CB0004, 0x03CA0920
.long 0x0A080920
.long 0x0A0808FF, 0x40135761
.long 0x7E084104
.long 0xBF800000
.long 0x020808F2
.long 0x7E084504
.long 0xBF800000
.long 0xD1CB0004, 0x03D208F5
.long 0x0A080920
.long 0x0A4008F0
.long 0x0A0842FF, 0x3D372713
.long 0xD1CB0004, 0x03CA0921
.long 0x0A080921
.long 0x0A0808FF, 0x40135761
.long 0x7E084104
.long 0xBF800000
.long 0x020808F2
.long 0x7E084504
.long 0xBF800000
.long 0xD1CB0004, 0x03D208F5
.long 0x0A080921
.long 0x0A4208F0
.long 0x0A0844FF, 0x3D372713
.long 0xD1CB0004, 0x03CA0922
	;; [unrolled: 12-line block ×7, first 2 shown]
.long 0x0A080927
.long 0x0A0808FF, 0x40135761
.long 0x7E084104
.long 0xBF800000
	;; [unrolled: 1-line block ×5, first 2 shown]
.long 0xD1CB0004, 0x03D208F5
.long 0x0A080927
.long 0x0A4E08F0
	;; [unrolled: 1-line block ×4, first 2 shown]
.long 0xD2A00020, 0x00024320
.long 0x7E441522
.long 0x7E461523
.long 0xD2A00021, 0x00024722
.long 0xE074D000, 0x80142007
	;; [unrolled: 1-line block ×3, first 2 shown]
.long 0x680E0F08
.long 0x7E481524
	;; [unrolled: 1-line block ×3, first 2 shown]
.long 0xD2A00022, 0x00024B24
.long 0x7E4C1526
.long 0x7E4E1527
.long 0xD2A00023, 0x00024F26
.long 0xE074D000, 0x80142207
.long 0xBF800000
.long 0xBF800000
	;; [unrolled: 1-line block ×3, first 2 shown]
.long 0xD1FE0006, 0x020A0103
.long 0xD1FE0007, 0x02060103
	;; [unrolled: 1-line block ×10, first 2 shown]
.long 0xBF800001
.long 0xE07CD000, 0x80032006
.long 0xE07CD010, 0x80032406
.long 0xBF800000
.long 0x92541415
	;; [unrolled: 1-line block ×16, first 2 shown]
.long 0xC2330CCC, 0x00000000
.long 0x965B811C
.long 0x925A811C
.long 0x80DE811D
.long 0x925E815E
.long 0x965D2A5E
.long 0x925C2A5E
.long 0x805A5C5A
.long 0x825B5D5B
.long 0x80DE811E
.long 0x925E815E
.long 0x965D2B5E
.long 0x925C2B5E
.long 0x805A5C5A
.long 0x825B5D5B
.long 0x8ED6825A
.long 0x7E1602FF, 0x80000000
.long 0xBEDC0016
.long 0xBEDD0017
	;; [unrolled: 1-line block ×9, first 2 shown]
.long 0xD2850001, 0x00020290
.long 0x260ACCBF
.long 0x200A0A83
	;; [unrolled: 1-line block ×3, first 2 shown]
.long 0xD2850002, 0x00005501
.long 0xD2850003, 0x00005101
.long 0x260A0883
.long 0xD2850005, 0x00020AA0
.long 0x2600CC87
.long 0x24000082
	;; [unrolled: 1-line block ×3, first 2 shown]
.long 0x923302FF, 0x00000080
.long 0x68000033
.long 0x92330390
	;; [unrolled: 1-line block ×3, first 2 shown]
.long 0xD1FE0006, 0x020A0103
.long 0xD1FE0007, 0x02060103
	;; [unrolled: 1-line block ×3, first 2 shown]
.long 0x68100D08
.long 0x924202FF, 0x00000080
.long 0xD1350009, 0x00008500
.long 0x24121282
.long 0xBF8CC07F
.long 0xBF8A0000
.long 0xD9FE0000, 0x10000009
.long 0xD9FE0000, 0x14000009
.long 0x24140082
.long 0xE05C1000, 0x8012180A
.long 0xE05C1000, 0x80121C0A
	;; [unrolled: 1-line block ×4, first 2 shown]
.long 0xBE850032
.long 0x81858105
	;; [unrolled: 1-line block ×6, first 2 shown]
.long 0xE05CD000, 0x80173C06
.long 0xE05CD000, 0x80174008
.long 0x81858105
.long 0x805C565C
.long 0x825D575D
.long 0xBF008005
.long 0xBF850598
.long 0xE05CD000, 0x80174406
.long 0xE05CD000, 0x80174808
.long 0x81858105
.long 0x805C565C
.long 0x825D575D
.long 0xBF008005
.long 0xBF85057C
	;; [unrolled: 7-line block ×14, first 2 shown]
.long 0xE05CD000, 0x8017AC06
.long 0xE05CD000, 0x8017B008
.long 0xBF8C4F7C
.long 0xD3B24020, 0x18027920
.long 0xD3B24022, 0x18027D22
.long 0xD3B24024, 0x18028124
.long 0xD3B24026, 0x18028526
.long 0x81858105
.long 0xBF05CE05
.long 0xBF85051D
.long 0x805C565C
.long 0x825D575D
.long 0xD0C60058, 0x00000A80
.long 0xD100000C, 0x01621706
.long 0xD100000D, 0x01621708
.long 0xE05CD000, 0x80173C0C
.long 0xE05CD000, 0x8017400D
.long 0xBF8C4F7C
.long 0xD3B24020, 0x18028920
.long 0xD3B24022, 0x18028D22
.long 0xD3B24024, 0x18029124
.long 0xD3B24026, 0x18029526
.long 0x81858105
.long 0xBF05CE05
.long 0xBF850505
.long 0x805C565C
.long 0x825D575D
.long 0xD0C60058, 0x00000A80
.long 0xD100000C, 0x01621706
.long 0xD100000D, 0x01621708
	;; [unrolled: 15-line block ×15, first 2 shown]
.long 0xE05CD000, 0x8017AC0C
.long 0xE05CD000, 0x8017B00D
.long 0xBF02CE05
.long 0xBF85FE96
.long 0xBF8C4F7A
.long 0xD3B24020, 0x18027920
.long 0xD3B24022, 0x18027D22
.long 0xD3B24024, 0x18028124
.long 0xD3B24026, 0x18028526
.long 0xBF8C4F78
.long 0xD3B24020, 0x18028920
.long 0xD3B24022, 0x18028D22
.long 0xD3B24024, 0x18029124
.long 0xD3B24026, 0x18029526
.long 0xBF8C4F76
	;; [unrolled: 5-line block ×14, first 2 shown]
.long 0xBF8C4F78
.long 0xD3B24020, 0x18027920
.long 0xD3B24022, 0x18027D22
.long 0xD3B24024, 0x18028124
.long 0xD3B24026, 0x18028526
.long 0xBF8C4F76
.long 0xD3B24020, 0x18028920
.long 0xD3B24022, 0x18028D22
.long 0xD3B24024, 0x18029124
.long 0xD3B24026, 0x18029526
	;; [unrolled: 5-line block ×13, first 2 shown]
.long 0xBF8202CA
.long 0xBF8C4F76
.long 0xD3B24020, 0x18027920
.long 0xD3B24022, 0x18027D22
.long 0xD3B24024, 0x18028124
.long 0xD3B24026, 0x18028526
.long 0xBF8C4F74
.long 0xD3B24020, 0x18028920
.long 0xD3B24022, 0x18028D22
.long 0xD3B24024, 0x18029124
.long 0xD3B24026, 0x18029526
	;; [unrolled: 5-line block ×12, first 2 shown]
.long 0xBF82025D
.long 0xBF8C4F74
.long 0xD3B24020, 0x18027920
.long 0xD3B24022, 0x18027D22
.long 0xD3B24024, 0x18028124
.long 0xD3B24026, 0x18028526
.long 0xBF8C4F72
.long 0xD3B24020, 0x18028920
.long 0xD3B24022, 0x18028D22
.long 0xD3B24024, 0x18029124
.long 0xD3B24026, 0x18029526
.long 0xBF8C4F70
.long 0xD3B24020, 0x18029920
.long 0xD3B24022, 0x18029D22
.long 0xD3B24024, 0x1802A124
.long 0xD3B24026, 0x1802A526
.long 0xBF8C0F7E
.long 0xD3B24020, 0x1802A920
.long 0xD3B24022, 0x1802AD22
.long 0xD3B24024, 0x1802B124
.long 0xD3B24026, 0x1802B526
.long 0xBF8C0F7C
.long 0xD3B24020, 0x1802B920
.long 0xD3B24022, 0x1802BD22
.long 0xD3B24024, 0x1802C124
.long 0xD3B24026, 0x1802C526
.long 0xBF8C0F7A
.long 0xD3B24020, 0x1802C920
.long 0xD3B24022, 0x1802CD22
.long 0xD3B24024, 0x1802D124
.long 0xD3B24026, 0x1802D526
.long 0xBF8C0F78
.long 0xD3B24020, 0x1802D920
.long 0xD3B24022, 0x1802DD22
.long 0xD3B24024, 0x1802E124
.long 0xD3B24026, 0x1802E526
.long 0xBF8C0F76
.long 0xD3B24020, 0x1802E920
.long 0xD3B24022, 0x1802ED22
.long 0xD3B24024, 0x1802F124
.long 0xD3B24026, 0x1802F526
.long 0xBF8C0F74
.long 0xD3B24020, 0x1802F920
.long 0xD3B24022, 0x1802FD22
.long 0xD3B24024, 0x18030124
.long 0xD3B24026, 0x18030526
.long 0xBF8C0F72
.long 0xD3B24020, 0x18030920
.long 0xD3B24022, 0x18030D22
.long 0xD3B24024, 0x18031124
.long 0xD3B24026, 0x18031526
.long 0xBF8C0F70
.long 0xD3B24020, 0x18031920
.long 0xD3B24022, 0x18031D22
.long 0xD3B24024, 0x18032124
.long 0xD3B24026, 0x18032526
.long 0xBF8201F9
.long 0xBF8C4F72
.long 0xD3B24020, 0x18027920
.long 0xD3B24022, 0x18027D22
.long 0xD3B24024, 0x18028124
.long 0xD3B24026, 0x18028526
.long 0xBF8C4F70
.long 0xD3B24020, 0x18028920
.long 0xD3B24022, 0x18028D22
.long 0xD3B24024, 0x18029124
.long 0xD3B24026, 0x18029526
	;; [unrolled: 5-line block ×10, first 2 shown]
.long 0xBF82019E
.long 0xBF8C4F70
.long 0xD3B24020, 0x18027920
.long 0xD3B24022, 0x18027D22
.long 0xD3B24024, 0x18028124
.long 0xD3B24026, 0x18028526
.long 0xBF8C0F7E
.long 0xD3B24020, 0x18028920
.long 0xD3B24022, 0x18028D22
.long 0xD3B24024, 0x18029124
.long 0xD3B24026, 0x18029526
	;; [unrolled: 5-line block ×9, first 2 shown]
.long 0xBF82014C
.long 0xBF8C0F7E
.long 0xD3B24020, 0x18027920
.long 0xD3B24022, 0x18027D22
.long 0xD3B24024, 0x18028124
.long 0xD3B24026, 0x18028526
.long 0xBF8C0F7C
.long 0xD3B24020, 0x18028920
.long 0xD3B24022, 0x18028D22
.long 0xD3B24024, 0x18029124
.long 0xD3B24026, 0x18029526
	;; [unrolled: 5-line block ×8, first 2 shown]
.long 0xBF820103
.long 0xBF8C0F7C
.long 0xD3B24020, 0x18027920
.long 0xD3B24022, 0x18027D22
.long 0xD3B24024, 0x18028124
.long 0xD3B24026, 0x18028526
.long 0xBF8C0F7A
.long 0xD3B24020, 0x18028920
.long 0xD3B24022, 0x18028D22
.long 0xD3B24024, 0x18029124
.long 0xD3B24026, 0x18029526
	;; [unrolled: 5-line block ×7, first 2 shown]
.long 0xBF8200C3
.long 0xBF8C0F7A
.long 0xD3B24020, 0x18027920
.long 0xD3B24022, 0x18027D22
.long 0xD3B24024, 0x18028124
.long 0xD3B24026, 0x18028526
.long 0xBF8C0F78
.long 0xD3B24020, 0x18028920
.long 0xD3B24022, 0x18028D22
.long 0xD3B24024, 0x18029124
.long 0xD3B24026, 0x18029526
	;; [unrolled: 5-line block ×6, first 2 shown]
.long 0xBF82008C
.long 0xBF8C0F78
.long 0xD3B24020, 0x18027920
.long 0xD3B24022, 0x18027D22
.long 0xD3B24024, 0x18028124
.long 0xD3B24026, 0x18028526
.long 0xBF8C0F76
.long 0xD3B24020, 0x18028920
.long 0xD3B24022, 0x18028D22
.long 0xD3B24024, 0x18029124
.long 0xD3B24026, 0x18029526
	;; [unrolled: 5-line block ×5, first 2 shown]
.long 0xBF82005E
.long 0xBF8C0F76
.long 0xD3B24020, 0x18027920
.long 0xD3B24022, 0x18027D22
.long 0xD3B24024, 0x18028124
.long 0xD3B24026, 0x18028526
.long 0xBF8C0F74
.long 0xD3B24020, 0x18028920
.long 0xD3B24022, 0x18028D22
.long 0xD3B24024, 0x18029124
.long 0xD3B24026, 0x18029526
.long 0xBF8C0F72
.long 0xD3B24020, 0x18029920
.long 0xD3B24022, 0x18029D22
.long 0xD3B24024, 0x1802A124
.long 0xD3B24026, 0x1802A526
.long 0xBF8C0F70
.long 0xD3B24020, 0x1802A920
.long 0xD3B24022, 0x1802AD22
.long 0xD3B24024, 0x1802B124
.long 0xD3B24026, 0x1802B526
.long 0xBF820039
.long 0xBF8C0F74
.long 0xD3B24020, 0x18027920
.long 0xD3B24022, 0x18027D22
.long 0xD3B24024, 0x18028124
.long 0xD3B24026, 0x18028526
.long 0xBF8C0F72
.long 0xD3B24020, 0x18028920
.long 0xD3B24022, 0x18028D22
.long 0xD3B24024, 0x18029124
.long 0xD3B24026, 0x18029526
	;; [unrolled: 5-line block ×3, first 2 shown]
.long 0xBF82001D
.long 0xBF8C0F72
.long 0xD3B24020, 0x18027920
.long 0xD3B24022, 0x18027D22
	;; [unrolled: 1-line block ×4, first 2 shown]
.long 0xBF8C0F70
.long 0xD3B24020, 0x18028920
.long 0xD3B24022, 0x18028D22
	;; [unrolled: 1-line block ×4, first 2 shown]
.long 0xBF82000A
.long 0xBF8C0F70
.long 0xD3B24020, 0x18027920
.long 0xD3B24022, 0x18027D22
	;; [unrolled: 1-line block ×4, first 2 shown]
.long 0xBF820000
.long 0x0A404030
.long 0x0A424230
.long 0x0A444430
.long 0x0A464630
.long 0x0A484830
.long 0x0A4A4A30
.long 0x0A4C4C30
.long 0x0A4E4E30
.long 0xD0CC0038, 0x0001004A
.long 0xD1000018, 0x00E230F2
	;; [unrolled: 1-line block ×20, first 2 shown]
.long 0x0A08403E
.long 0xD046006A, 0x00010120
.long 0x00404104
.long 0x0A08423E
.long 0xD046006A, 0x00010121
.long 0x00424304
	;; [unrolled: 3-line block ×8, first 2 shown]
.long 0x7E401520
.long 0x7E421521
.long 0xD2A00020, 0x00024320
.long 0x7E441522
.long 0x7E461523
.long 0xD2A00021, 0x00024722
.long 0xE074D000, 0x80142007
	;; [unrolled: 1-line block ×3, first 2 shown]
.long 0x680E0F08
.long 0x7E481524
	;; [unrolled: 1-line block ×3, first 2 shown]
.long 0xD2A00022, 0x00024B24
.long 0x7E4C1526
.long 0x7E4E1527
.long 0xD2A00023, 0x00024F26
.long 0xE074D000, 0x80142207
.long 0xBF800000
.long 0xBF800000
	;; [unrolled: 1-line block ×3, first 2 shown]
.long 0xD1FE0006, 0x020A0103
.long 0xD1FE0007, 0x02060103
.long 0xD3D84020, 0x18000100
.long 0xD3D84021, 0x18000104
.long 0xD3D84022, 0x18000101
.long 0xD3D84023, 0x18000105
.long 0xD3D84024, 0x18000102
.long 0xD3D84025, 0x18000106
.long 0xD3D84026, 0x18000103
.long 0xD3D84027, 0x18000107
.long 0xBF800001
.long 0xE07CD000, 0x80032006
.long 0xE07CD010, 0x80032406
.long 0xBF800000
.long 0x92541415
	;; [unrolled: 1-line block ×16, first 2 shown]
.long 0xC2330CCC, 0x00000000
.long 0x965B811C
.long 0x925A811C
	;; [unrolled: 1-line block ×15, first 2 shown]
.long 0x7E1602FF, 0x80000000
.long 0xBEDC0016
.long 0xBEDD0017
	;; [unrolled: 1-line block ×9, first 2 shown]
.long 0xD2850001, 0x00020290
.long 0x260ACCBF
.long 0x200A0A83
	;; [unrolled: 1-line block ×3, first 2 shown]
.long 0xD2850002, 0x00005501
.long 0xD2850003, 0x00005101
.long 0x260A0883
.long 0xD2850005, 0x00020AA0
.long 0x2600CC87
.long 0x24000082
	;; [unrolled: 1-line block ×3, first 2 shown]
.long 0x923302FF, 0x00000080
.long 0x68000033
.long 0x92330390
	;; [unrolled: 1-line block ×3, first 2 shown]
.long 0xD1FE0006, 0x020A0103
.long 0xD1FE0007, 0x02060103
	;; [unrolled: 1-line block ×3, first 2 shown]
.long 0x68100D08
.long 0x924202FF, 0x00000080
.long 0xD1350009, 0x00008500
.long 0x24121282
.long 0xBF8CC07F
	;; [unrolled: 1-line block ×3, first 2 shown]
.long 0xD9FE0000, 0x10000009
.long 0xD9FE0000, 0x14000009
.long 0x24140082
.long 0xE05C1000, 0x8012180A
.long 0xE05C1000, 0x80121C0A
	;; [unrolled: 1-line block ×4, first 2 shown]
.long 0xBE850032
.long 0x81858105
	;; [unrolled: 1-line block ×6, first 2 shown]
.long 0xE05CD000, 0x80173C06
.long 0xE05CD000, 0x80174008
.long 0x81858105
.long 0x805C565C
.long 0x825D575D
.long 0xBF008005
.long 0xBF850598
.long 0xE05CD000, 0x80174406
.long 0xE05CD000, 0x80174808
.long 0x81858105
.long 0x805C565C
.long 0x825D575D
.long 0xBF008005
.long 0xBF85057C
.long 0xE05CD000, 0x80174C06
.long 0xE05CD000, 0x80175008
.long 0x81858105
.long 0x805C565C
.long 0x825D575D
.long 0xBF008005
.long 0xBF850557
.long 0xE05CD000, 0x80175406
.long 0xE05CD000, 0x80175808
.long 0x81858105
.long 0x805C565C
.long 0x825D575D
.long 0xBF008005
.long 0xBF850529
.long 0xE05CD000, 0x80175C06
.long 0xE05CD000, 0x80176008
.long 0x81858105
.long 0x805C565C
.long 0x825D575D
.long 0xBF008005
.long 0xBF8504F2
.long 0xE05CD000, 0x80176406
.long 0xE05CD000, 0x80176808
.long 0x81858105
.long 0x805C565C
.long 0x825D575D
.long 0xBF008005
.long 0xBF8504B2
.long 0xE05CD000, 0x80176C06
.long 0xE05CD000, 0x80177008
.long 0x81858105
.long 0x805C565C
.long 0x825D575D
.long 0xBF008005
.long 0xBF850469
.long 0xE05CD000, 0x80177406
.long 0xE05CD000, 0x80177808
.long 0x81858105
.long 0x805C565C
.long 0x825D575D
.long 0xBF008005
.long 0xBF850417
.long 0xE05CD000, 0x80177C06
.long 0xE05CD000, 0x80178008
.long 0x81858105
.long 0x805C565C
.long 0x825D575D
.long 0xBF008005
.long 0xBF8503BC
.long 0xE05CD000, 0x80178406
.long 0xE05CD000, 0x80178808
.long 0x81858105
.long 0x805C565C
.long 0x825D575D
.long 0xBF008005
.long 0xBF850358
.long 0xE05CD000, 0x80178C06
.long 0xE05CD000, 0x80179008
.long 0x81858105
.long 0x805C565C
.long 0x825D575D
.long 0xBF008005
.long 0xBF8502EB
.long 0xE05CD000, 0x80179406
.long 0xE05CD000, 0x80179808
.long 0x81858105
.long 0x805C565C
.long 0x825D575D
.long 0xBF008005
.long 0xBF850275
.long 0xE05CD000, 0x80179C06
.long 0xE05CD000, 0x8017A008
.long 0x81858105
.long 0x805C565C
.long 0x825D575D
.long 0xBF008005
.long 0xBF8501F6
.long 0xE05CD000, 0x8017A406
.long 0xE05CD000, 0x8017A808
.long 0x81858105
.long 0x805C565C
.long 0x825D575D
.long 0xBF008005
.long 0xBF85016E
.long 0xE05CD000, 0x8017AC06
.long 0xE05CD000, 0x8017B008
.long 0xBF8C4F7C
.long 0xD3B24020, 0x18027920
.long 0xD3B24022, 0x18027D22
.long 0xD3B24024, 0x18028124
.long 0xD3B24026, 0x18028526
.long 0x81858105
.long 0xBF05CE05
.long 0xBF85051D
.long 0x805C565C
.long 0x825D575D
.long 0xD0C60058, 0x00000A80
.long 0xD100000C, 0x01621706
.long 0xD100000D, 0x01621708
.long 0xE05CD000, 0x80173C0C
.long 0xE05CD000, 0x8017400D
.long 0xBF8C4F7C
.long 0xD3B24020, 0x18028920
.long 0xD3B24022, 0x18028D22
.long 0xD3B24024, 0x18029124
.long 0xD3B24026, 0x18029526
.long 0x81858105
.long 0xBF05CE05
.long 0xBF850505
.long 0x805C565C
.long 0x825D575D
.long 0xD0C60058, 0x00000A80
.long 0xD100000C, 0x01621706
.long 0xD100000D, 0x01621708
	;; [unrolled: 15-line block ×15, first 2 shown]
.long 0xE05CD000, 0x8017AC0C
.long 0xE05CD000, 0x8017B00D
.long 0xBF02CE05
.long 0xBF85FE96
	;; [unrolled: 1-line block ×3, first 2 shown]
.long 0xD3B24020, 0x18027920
.long 0xD3B24022, 0x18027D22
.long 0xD3B24024, 0x18028124
.long 0xD3B24026, 0x18028526
.long 0xBF8C4F78
.long 0xD3B24020, 0x18028920
.long 0xD3B24022, 0x18028D22
.long 0xD3B24024, 0x18029124
.long 0xD3B24026, 0x18029526
.long 0xBF8C4F76
	;; [unrolled: 5-line block ×14, first 2 shown]
.long 0xBF8C4F78
.long 0xD3B24020, 0x18027920
.long 0xD3B24022, 0x18027D22
.long 0xD3B24024, 0x18028124
.long 0xD3B24026, 0x18028526
.long 0xBF8C4F76
.long 0xD3B24020, 0x18028920
.long 0xD3B24022, 0x18028D22
.long 0xD3B24024, 0x18029124
.long 0xD3B24026, 0x18029526
	;; [unrolled: 5-line block ×13, first 2 shown]
.long 0xBF8202CA
.long 0xBF8C4F76
.long 0xD3B24020, 0x18027920
.long 0xD3B24022, 0x18027D22
.long 0xD3B24024, 0x18028124
.long 0xD3B24026, 0x18028526
.long 0xBF8C4F74
.long 0xD3B24020, 0x18028920
.long 0xD3B24022, 0x18028D22
.long 0xD3B24024, 0x18029124
.long 0xD3B24026, 0x18029526
	;; [unrolled: 5-line block ×12, first 2 shown]
.long 0xBF82025D
.long 0xBF8C4F74
.long 0xD3B24020, 0x18027920
.long 0xD3B24022, 0x18027D22
.long 0xD3B24024, 0x18028124
.long 0xD3B24026, 0x18028526
.long 0xBF8C4F72
.long 0xD3B24020, 0x18028920
.long 0xD3B24022, 0x18028D22
.long 0xD3B24024, 0x18029124
.long 0xD3B24026, 0x18029526
	;; [unrolled: 5-line block ×11, first 2 shown]
.long 0xBF8201F9
.long 0xBF8C4F72
.long 0xD3B24020, 0x18027920
.long 0xD3B24022, 0x18027D22
.long 0xD3B24024, 0x18028124
.long 0xD3B24026, 0x18028526
.long 0xBF8C4F70
.long 0xD3B24020, 0x18028920
.long 0xD3B24022, 0x18028D22
.long 0xD3B24024, 0x18029124
.long 0xD3B24026, 0x18029526
	;; [unrolled: 5-line block ×10, first 2 shown]
.long 0xBF82019E
.long 0xBF8C4F70
.long 0xD3B24020, 0x18027920
.long 0xD3B24022, 0x18027D22
.long 0xD3B24024, 0x18028124
.long 0xD3B24026, 0x18028526
.long 0xBF8C0F7E
.long 0xD3B24020, 0x18028920
.long 0xD3B24022, 0x18028D22
.long 0xD3B24024, 0x18029124
.long 0xD3B24026, 0x18029526
	;; [unrolled: 5-line block ×9, first 2 shown]
.long 0xBF82014C
.long 0xBF8C0F7E
.long 0xD3B24020, 0x18027920
.long 0xD3B24022, 0x18027D22
.long 0xD3B24024, 0x18028124
.long 0xD3B24026, 0x18028526
.long 0xBF8C0F7C
.long 0xD3B24020, 0x18028920
.long 0xD3B24022, 0x18028D22
.long 0xD3B24024, 0x18029124
.long 0xD3B24026, 0x18029526
	;; [unrolled: 5-line block ×8, first 2 shown]
.long 0xBF820103
.long 0xBF8C0F7C
.long 0xD3B24020, 0x18027920
.long 0xD3B24022, 0x18027D22
.long 0xD3B24024, 0x18028124
.long 0xD3B24026, 0x18028526
.long 0xBF8C0F7A
.long 0xD3B24020, 0x18028920
.long 0xD3B24022, 0x18028D22
.long 0xD3B24024, 0x18029124
.long 0xD3B24026, 0x18029526
	;; [unrolled: 5-line block ×7, first 2 shown]
.long 0xBF8200C3
.long 0xBF8C0F7A
.long 0xD3B24020, 0x18027920
.long 0xD3B24022, 0x18027D22
.long 0xD3B24024, 0x18028124
.long 0xD3B24026, 0x18028526
.long 0xBF8C0F78
.long 0xD3B24020, 0x18028920
.long 0xD3B24022, 0x18028D22
.long 0xD3B24024, 0x18029124
.long 0xD3B24026, 0x18029526
	;; [unrolled: 5-line block ×6, first 2 shown]
.long 0xBF82008C
.long 0xBF8C0F78
.long 0xD3B24020, 0x18027920
.long 0xD3B24022, 0x18027D22
.long 0xD3B24024, 0x18028124
.long 0xD3B24026, 0x18028526
.long 0xBF8C0F76
.long 0xD3B24020, 0x18028920
.long 0xD3B24022, 0x18028D22
.long 0xD3B24024, 0x18029124
.long 0xD3B24026, 0x18029526
.long 0xBF8C0F74
.long 0xD3B24020, 0x18029920
.long 0xD3B24022, 0x18029D22
.long 0xD3B24024, 0x1802A124
.long 0xD3B24026, 0x1802A526
.long 0xBF8C0F72
.long 0xD3B24020, 0x1802A920
.long 0xD3B24022, 0x1802AD22
.long 0xD3B24024, 0x1802B124
.long 0xD3B24026, 0x1802B526
.long 0xBF8C0F70
.long 0xD3B24020, 0x1802B920
.long 0xD3B24022, 0x1802BD22
.long 0xD3B24024, 0x1802C124
.long 0xD3B24026, 0x1802C526
.long 0xBF82005E
.long 0xBF8C0F76
.long 0xD3B24020, 0x18027920
.long 0xD3B24022, 0x18027D22
.long 0xD3B24024, 0x18028124
.long 0xD3B24026, 0x18028526
.long 0xBF8C0F74
.long 0xD3B24020, 0x18028920
.long 0xD3B24022, 0x18028D22
.long 0xD3B24024, 0x18029124
.long 0xD3B24026, 0x18029526
	;; [unrolled: 5-line block ×4, first 2 shown]
.long 0xBF820039
.long 0xBF8C0F74
.long 0xD3B24020, 0x18027920
.long 0xD3B24022, 0x18027D22
.long 0xD3B24024, 0x18028124
.long 0xD3B24026, 0x18028526
.long 0xBF8C0F72
.long 0xD3B24020, 0x18028920
.long 0xD3B24022, 0x18028D22
.long 0xD3B24024, 0x18029124
.long 0xD3B24026, 0x18029526
	;; [unrolled: 5-line block ×3, first 2 shown]
.long 0xBF82001D
.long 0xBF8C0F72
.long 0xD3B24020, 0x18027920
.long 0xD3B24022, 0x18027D22
.long 0xD3B24024, 0x18028124
.long 0xD3B24026, 0x18028526
.long 0xBF8C0F70
.long 0xD3B24020, 0x18028920
.long 0xD3B24022, 0x18028D22
.long 0xD3B24024, 0x18029124
.long 0xD3B24026, 0x18029526
.long 0xBF82000A
.long 0xBF8C0F70
.long 0xD3B24020, 0x18027920
.long 0xD3B24022, 0x18027D22
	;; [unrolled: 1-line block ×4, first 2 shown]
.long 0xBF820000
.long 0x0A404030
	;; [unrolled: 1-line block ×9, first 2 shown]
.long 0xD0CC0038, 0x0001004A
.long 0xD1000018, 0x00E230F2
	;; [unrolled: 1-line block ×28, first 2 shown]
.long 0x7E401520
.long 0x7E421521
.long 0xD2A00020, 0x00024320
.long 0x7E441522
.long 0x7E461523
.long 0xD2A00021, 0x00024722
.long 0xE074D000, 0x80142007
	;; [unrolled: 1-line block ×3, first 2 shown]
.long 0x680E0F08
.long 0x7E481524
	;; [unrolled: 1-line block ×3, first 2 shown]
.long 0xD2A00022, 0x00024B24
.long 0x7E4C1526
.long 0x7E4E1527
.long 0xD2A00023, 0x00024F26
.long 0xE074D000, 0x80142207
.long 0xBF800000
.long 0xBF800000
	;; [unrolled: 1-line block ×3, first 2 shown]
.long 0xD1FE0006, 0x020A0103
.long 0xD1FE0007, 0x02060103
	;; [unrolled: 1-line block ×10, first 2 shown]
.long 0xBF800001
.long 0xE07CD000, 0x80032006
.long 0xE07CD010, 0x80032406
.long 0xBF800000
.long 0x92541415
	;; [unrolled: 1-line block ×16, first 2 shown]
.long 0xC2330CCC, 0x00000000
.long 0x965B811C
.long 0x925A811C
	;; [unrolled: 1-line block ×15, first 2 shown]
.long 0x7E1602FF, 0x80000000
.long 0xBEDC0016
.long 0xBEDD0017
	;; [unrolled: 1-line block ×9, first 2 shown]
.long 0xD2850001, 0x00020290
.long 0x260ACCBF
.long 0x200A0A83
	;; [unrolled: 1-line block ×3, first 2 shown]
.long 0xD2850002, 0x00005501
.long 0xD2850003, 0x00005101
.long 0x260A0883
.long 0xD2850005, 0x00020AA0
.long 0x2600CC87
.long 0x24000082
	;; [unrolled: 1-line block ×3, first 2 shown]
.long 0x923302FF, 0x00000080
.long 0x68000033
.long 0x92330390
	;; [unrolled: 1-line block ×3, first 2 shown]
.long 0xD1FE0006, 0x020A0103
.long 0xD1FE0007, 0x02060103
	;; [unrolled: 1-line block ×3, first 2 shown]
.long 0x68100D08
.long 0x924202FF, 0x00000080
.long 0xD1350009, 0x00008500
.long 0x24121282
.long 0xBF8CC07F
	;; [unrolled: 1-line block ×3, first 2 shown]
.long 0xD9FE0000, 0x10000009
.long 0xD9FE0000, 0x14000009
.long 0x24140082
.long 0xE05C1000, 0x8012180A
.long 0xE05C1000, 0x80121C0A
.long 0xE05CD000, 0x80172006
.long 0xE05CD000, 0x80172408
.long 0xBE850032
.long 0x81858105
	;; [unrolled: 1-line block ×6, first 2 shown]
.long 0xE05CD000, 0x80173C06
.long 0xE05CD000, 0x80174008
.long 0x81858105
.long 0x805C565C
.long 0x825D575D
.long 0xBF008005
.long 0xBF850598
.long 0xE05CD000, 0x80174406
.long 0xE05CD000, 0x80174808
.long 0x81858105
.long 0x805C565C
.long 0x825D575D
.long 0xBF008005
.long 0xBF85057C
	;; [unrolled: 7-line block ×14, first 2 shown]
.long 0xE05CD000, 0x8017AC06
.long 0xE05CD000, 0x8017B008
.long 0xBF8C4F7C
.long 0xD3B24020, 0x18027920
.long 0xD3B24022, 0x18027D22
.long 0xD3B24024, 0x18028124
.long 0xD3B24026, 0x18028526
.long 0x81858105
.long 0xBF05CE05
.long 0xBF85051D
.long 0x805C565C
.long 0x825D575D
.long 0xD0C60058, 0x00000A80
.long 0xD100000C, 0x01621706
.long 0xD100000D, 0x01621708
.long 0xE05CD000, 0x80173C0C
.long 0xE05CD000, 0x8017400D
.long 0xBF8C4F7C
.long 0xD3B24020, 0x18028920
.long 0xD3B24022, 0x18028D22
.long 0xD3B24024, 0x18029124
.long 0xD3B24026, 0x18029526
.long 0x81858105
.long 0xBF05CE05
.long 0xBF850505
.long 0x805C565C
.long 0x825D575D
.long 0xD0C60058, 0x00000A80
.long 0xD100000C, 0x01621706
.long 0xD100000D, 0x01621708
	;; [unrolled: 15-line block ×15, first 2 shown]
.long 0xE05CD000, 0x8017AC0C
.long 0xE05CD000, 0x8017B00D
.long 0xBF02CE05
.long 0xBF85FE96
	;; [unrolled: 1-line block ×3, first 2 shown]
.long 0xD3B24020, 0x18027920
.long 0xD3B24022, 0x18027D22
.long 0xD3B24024, 0x18028124
.long 0xD3B24026, 0x18028526
.long 0xBF8C4F78
.long 0xD3B24020, 0x18028920
.long 0xD3B24022, 0x18028D22
.long 0xD3B24024, 0x18029124
.long 0xD3B24026, 0x18029526
.long 0xBF8C4F76
	;; [unrolled: 5-line block ×14, first 2 shown]
.long 0xBF8C4F78
.long 0xD3B24020, 0x18027920
.long 0xD3B24022, 0x18027D22
.long 0xD3B24024, 0x18028124
.long 0xD3B24026, 0x18028526
.long 0xBF8C4F76
.long 0xD3B24020, 0x18028920
.long 0xD3B24022, 0x18028D22
.long 0xD3B24024, 0x18029124
.long 0xD3B24026, 0x18029526
.long 0xBF8C4F74
.long 0xD3B24020, 0x18029920
.long 0xD3B24022, 0x18029D22
.long 0xD3B24024, 0x1802A124
.long 0xD3B24026, 0x1802A526
.long 0xBF8C4F72
.long 0xD3B24020, 0x1802A920
.long 0xD3B24022, 0x1802AD22
.long 0xD3B24024, 0x1802B124
.long 0xD3B24026, 0x1802B526
.long 0xBF8C4F70
.long 0xD3B24020, 0x1802B920
.long 0xD3B24022, 0x1802BD22
.long 0xD3B24024, 0x1802C124
.long 0xD3B24026, 0x1802C526
.long 0xBF8C0F7E
.long 0xD3B24020, 0x1802C920
.long 0xD3B24022, 0x1802CD22
.long 0xD3B24024, 0x1802D124
.long 0xD3B24026, 0x1802D526
.long 0xBF8C0F7C
.long 0xD3B24020, 0x1802D920
.long 0xD3B24022, 0x1802DD22
.long 0xD3B24024, 0x1802E124
.long 0xD3B24026, 0x1802E526
.long 0xBF8C0F7A
.long 0xD3B24020, 0x1802E920
.long 0xD3B24022, 0x1802ED22
.long 0xD3B24024, 0x1802F124
.long 0xD3B24026, 0x1802F526
.long 0xBF8C0F78
.long 0xD3B24020, 0x1802F920
.long 0xD3B24022, 0x1802FD22
.long 0xD3B24024, 0x18030124
.long 0xD3B24026, 0x18030526
.long 0xBF8C0F76
.long 0xD3B24020, 0x18030920
.long 0xD3B24022, 0x18030D22
.long 0xD3B24024, 0x18031124
.long 0xD3B24026, 0x18031526
.long 0xBF8C0F74
.long 0xD3B24020, 0x18031920
.long 0xD3B24022, 0x18031D22
.long 0xD3B24024, 0x18032124
.long 0xD3B24026, 0x18032526
.long 0xBF8C0F72
.long 0xD3B24020, 0x18032920
.long 0xD3B24022, 0x18032D22
.long 0xD3B24024, 0x18033124
.long 0xD3B24026, 0x18033526
.long 0xBF8C0F70
.long 0xD3B24020, 0x18033920
.long 0xD3B24022, 0x18033D22
.long 0xD3B24024, 0x18034124
.long 0xD3B24026, 0x18034526
.long 0xBF8202CA
.long 0xBF8C4F76
.long 0xD3B24020, 0x18027920
.long 0xD3B24022, 0x18027D22
.long 0xD3B24024, 0x18028124
.long 0xD3B24026, 0x18028526
.long 0xBF8C4F74
.long 0xD3B24020, 0x18028920
.long 0xD3B24022, 0x18028D22
.long 0xD3B24024, 0x18029124
.long 0xD3B24026, 0x18029526
	;; [unrolled: 5-line block ×12, first 2 shown]
.long 0xBF82025D
.long 0xBF8C4F74
.long 0xD3B24020, 0x18027920
.long 0xD3B24022, 0x18027D22
.long 0xD3B24024, 0x18028124
.long 0xD3B24026, 0x18028526
.long 0xBF8C4F72
.long 0xD3B24020, 0x18028920
.long 0xD3B24022, 0x18028D22
.long 0xD3B24024, 0x18029124
.long 0xD3B24026, 0x18029526
	;; [unrolled: 5-line block ×11, first 2 shown]
.long 0xBF8201F9
.long 0xBF8C4F72
.long 0xD3B24020, 0x18027920
.long 0xD3B24022, 0x18027D22
.long 0xD3B24024, 0x18028124
.long 0xD3B24026, 0x18028526
.long 0xBF8C4F70
.long 0xD3B24020, 0x18028920
.long 0xD3B24022, 0x18028D22
.long 0xD3B24024, 0x18029124
.long 0xD3B24026, 0x18029526
	;; [unrolled: 5-line block ×10, first 2 shown]
.long 0xBF82019E
.long 0xBF8C4F70
.long 0xD3B24020, 0x18027920
.long 0xD3B24022, 0x18027D22
.long 0xD3B24024, 0x18028124
.long 0xD3B24026, 0x18028526
.long 0xBF8C0F7E
.long 0xD3B24020, 0x18028920
.long 0xD3B24022, 0x18028D22
.long 0xD3B24024, 0x18029124
.long 0xD3B24026, 0x18029526
	;; [unrolled: 5-line block ×9, first 2 shown]
.long 0xBF82014C
.long 0xBF8C0F7E
.long 0xD3B24020, 0x18027920
.long 0xD3B24022, 0x18027D22
.long 0xD3B24024, 0x18028124
.long 0xD3B24026, 0x18028526
.long 0xBF8C0F7C
.long 0xD3B24020, 0x18028920
.long 0xD3B24022, 0x18028D22
.long 0xD3B24024, 0x18029124
.long 0xD3B24026, 0x18029526
	;; [unrolled: 5-line block ×8, first 2 shown]
.long 0xBF820103
.long 0xBF8C0F7C
.long 0xD3B24020, 0x18027920
.long 0xD3B24022, 0x18027D22
.long 0xD3B24024, 0x18028124
.long 0xD3B24026, 0x18028526
.long 0xBF8C0F7A
.long 0xD3B24020, 0x18028920
.long 0xD3B24022, 0x18028D22
.long 0xD3B24024, 0x18029124
.long 0xD3B24026, 0x18029526
	;; [unrolled: 5-line block ×7, first 2 shown]
.long 0xBF8200C3
.long 0xBF8C0F7A
.long 0xD3B24020, 0x18027920
.long 0xD3B24022, 0x18027D22
.long 0xD3B24024, 0x18028124
.long 0xD3B24026, 0x18028526
.long 0xBF8C0F78
.long 0xD3B24020, 0x18028920
.long 0xD3B24022, 0x18028D22
.long 0xD3B24024, 0x18029124
.long 0xD3B24026, 0x18029526
	;; [unrolled: 5-line block ×6, first 2 shown]
.long 0xBF82008C
.long 0xBF8C0F78
.long 0xD3B24020, 0x18027920
.long 0xD3B24022, 0x18027D22
.long 0xD3B24024, 0x18028124
.long 0xD3B24026, 0x18028526
.long 0xBF8C0F76
.long 0xD3B24020, 0x18028920
.long 0xD3B24022, 0x18028D22
.long 0xD3B24024, 0x18029124
.long 0xD3B24026, 0x18029526
.long 0xBF8C0F74
.long 0xD3B24020, 0x18029920
.long 0xD3B24022, 0x18029D22
.long 0xD3B24024, 0x1802A124
.long 0xD3B24026, 0x1802A526
.long 0xBF8C0F72
.long 0xD3B24020, 0x1802A920
.long 0xD3B24022, 0x1802AD22
.long 0xD3B24024, 0x1802B124
.long 0xD3B24026, 0x1802B526
.long 0xBF8C0F70
.long 0xD3B24020, 0x1802B920
.long 0xD3B24022, 0x1802BD22
.long 0xD3B24024, 0x1802C124
.long 0xD3B24026, 0x1802C526
.long 0xBF82005E
.long 0xBF8C0F76
.long 0xD3B24020, 0x18027920
.long 0xD3B24022, 0x18027D22
.long 0xD3B24024, 0x18028124
.long 0xD3B24026, 0x18028526
.long 0xBF8C0F74
.long 0xD3B24020, 0x18028920
.long 0xD3B24022, 0x18028D22
.long 0xD3B24024, 0x18029124
.long 0xD3B24026, 0x18029526
	;; [unrolled: 5-line block ×4, first 2 shown]
.long 0xBF820039
.long 0xBF8C0F74
.long 0xD3B24020, 0x18027920
.long 0xD3B24022, 0x18027D22
.long 0xD3B24024, 0x18028124
.long 0xD3B24026, 0x18028526
.long 0xBF8C0F72
.long 0xD3B24020, 0x18028920
.long 0xD3B24022, 0x18028D22
.long 0xD3B24024, 0x18029124
.long 0xD3B24026, 0x18029526
	;; [unrolled: 5-line block ×3, first 2 shown]
.long 0xBF82001D
.long 0xBF8C0F72
.long 0xD3B24020, 0x18027920
.long 0xD3B24022, 0x18027D22
	;; [unrolled: 1-line block ×4, first 2 shown]
.long 0xBF8C0F70
.long 0xD3B24020, 0x18028920
.long 0xD3B24022, 0x18028D22
	;; [unrolled: 1-line block ×4, first 2 shown]
.long 0xBF82000A
.long 0xBF8C0F70
.long 0xD3B24020, 0x18027920
.long 0xD3B24022, 0x18027D22
.long 0xD3B24024, 0x18028124
.long 0xD3B24026, 0x18028526
.long 0xBF820000
.long 0x0A404030
	;; [unrolled: 1-line block ×9, first 2 shown]
.long 0xD0CC0038, 0x0001004A
.long 0xD1000018, 0x00E230F2
	;; [unrolled: 1-line block ×21, first 2 shown]
.long 0x7E404120
.long 0xBF800000
.long 0x024040F2
.long 0x7E404520
.long 0xBF800000
.long 0x0A4242FF, 0xBFB8AA3B
.long 0x7E424121
.long 0xBF800000
.long 0x024242F2
.long 0x7E424521
.long 0xBF800000
.long 0x0A4444FF, 0xBFB8AA3B
.long 0x7E444122
.long 0xBF800000
.long 0x024444F2
.long 0x7E444522
.long 0xBF800000
.long 0x0A4646FF, 0xBFB8AA3B
.long 0x7E464123
.long 0xBF800000
.long 0x024646F2
.long 0x7E464523
.long 0xBF800000
.long 0x0A4848FF, 0xBFB8AA3B
.long 0x7E484124
.long 0xBF800000
.long 0x024848F2
.long 0x7E484524
.long 0xBF800000
.long 0x0A4A4AFF, 0xBFB8AA3B
.long 0x7E4A4125
.long 0xBF800000
.long 0x024A4AF2
.long 0x7E4A4525
.long 0xBF800000
.long 0x0A4C4CFF, 0xBFB8AA3B
.long 0x7E4C4126
.long 0xBF800000
.long 0x024C4CF2
.long 0x7E4C4526
.long 0xBF800000
.long 0x0A4E4EFF, 0xBFB8AA3B
.long 0x7E4E4127
.long 0xBF800000
	;; [unrolled: 1-line block ×7, first 2 shown]
.long 0xD2A00020, 0x00024320
.long 0x7E441522
.long 0x7E461523
.long 0xD2A00021, 0x00024722
.long 0xE074D000, 0x80142007
	;; [unrolled: 1-line block ×3, first 2 shown]
.long 0x680E0F08
.long 0x7E481524
	;; [unrolled: 1-line block ×3, first 2 shown]
.long 0xD2A00022, 0x00024B24
.long 0x7E4C1526
.long 0x7E4E1527
.long 0xD2A00023, 0x00024F26
.long 0xE074D000, 0x80142207
.long 0xBF800000
.long 0xBF800000
.long 0xBF820DBD
.long 0xD1FE0006, 0x020A0103
.long 0xD1FE0007, 0x02060103
	;; [unrolled: 1-line block ×10, first 2 shown]
.long 0xBF800001
.long 0xE07CD000, 0x80032006
.long 0xE07CD010, 0x80032406
.long 0xBF800000
.long 0x92541415
	;; [unrolled: 1-line block ×16, first 2 shown]
.long 0xC2330CCC, 0x00000000
.long 0x965B811C
.long 0x925A811C
	;; [unrolled: 1-line block ×15, first 2 shown]
.long 0x7E1602FF, 0x80000000
.long 0xBEDC0016
.long 0xBEDD0017
	;; [unrolled: 1-line block ×9, first 2 shown]
.long 0xD2850001, 0x00020290
.long 0x260ACCBF
.long 0x200A0A83
.long 0x68020305
.long 0xD2850002, 0x00005501
.long 0xD2850003, 0x00005101
.long 0x260A0883
.long 0xD2850005, 0x00020AA0
.long 0x2600CC87
.long 0x24000082
	;; [unrolled: 1-line block ×3, first 2 shown]
.long 0x923302FF, 0x00000080
.long 0x68000033
.long 0x92330390
	;; [unrolled: 1-line block ×3, first 2 shown]
.long 0xD1FE0006, 0x020A0103
.long 0xD1FE0007, 0x02060103
	;; [unrolled: 1-line block ×3, first 2 shown]
.long 0x68100D08
.long 0x924202FF, 0x00000080
.long 0xD1350009, 0x00008500
.long 0x24121282
.long 0xBF8CC07F
.long 0xBF8A0000
.long 0xD9FE0000, 0x10000009
.long 0xD9FE0000, 0x14000009
.long 0x24140082
.long 0xE05C1000, 0x8012180A
.long 0xE05C1000, 0x80121C0A
	;; [unrolled: 1-line block ×4, first 2 shown]
.long 0xBE850032
.long 0x81858105
	;; [unrolled: 1-line block ×6, first 2 shown]
.long 0xE05CD000, 0x80173C06
.long 0xE05CD000, 0x80174008
.long 0x81858105
.long 0x805C565C
.long 0x825D575D
.long 0xBF008005
.long 0xBF850598
.long 0xE05CD000, 0x80174406
.long 0xE05CD000, 0x80174808
.long 0x81858105
.long 0x805C565C
.long 0x825D575D
.long 0xBF008005
.long 0xBF85057C
	;; [unrolled: 7-line block ×14, first 2 shown]
.long 0xE05CD000, 0x8017AC06
.long 0xE05CD000, 0x8017B008
.long 0xBF8C4F7C
.long 0xD3B24020, 0x18027920
.long 0xD3B24022, 0x18027D22
.long 0xD3B24024, 0x18028124
.long 0xD3B24026, 0x18028526
.long 0x81858105
.long 0xBF05CE05
.long 0xBF85051D
.long 0x805C565C
.long 0x825D575D
.long 0xD0C60058, 0x00000A80
.long 0xD100000C, 0x01621706
.long 0xD100000D, 0x01621708
.long 0xE05CD000, 0x80173C0C
.long 0xE05CD000, 0x8017400D
.long 0xBF8C4F7C
.long 0xD3B24020, 0x18028920
.long 0xD3B24022, 0x18028D22
.long 0xD3B24024, 0x18029124
.long 0xD3B24026, 0x18029526
.long 0x81858105
.long 0xBF05CE05
.long 0xBF850505
.long 0x805C565C
.long 0x825D575D
.long 0xD0C60058, 0x00000A80
.long 0xD100000C, 0x01621706
.long 0xD100000D, 0x01621708
.long 0xE05CD000, 0x8017440C
.long 0xE05CD000, 0x8017480D
.long 0xBF8C4F7C
.long 0xD3B24020, 0x18029920
.long 0xD3B24022, 0x18029D22
.long 0xD3B24024, 0x1802A124
.long 0xD3B24026, 0x1802A526
.long 0x81858105
.long 0xBF05CE05
.long 0xBF8504ED
.long 0x805C565C
.long 0x825D575D
.long 0xD0C60058, 0x00000A80
.long 0xD100000C, 0x01621706
.long 0xD100000D, 0x01621708
.long 0xE05CD000, 0x80174C0C
.long 0xE05CD000, 0x8017500D
.long 0xBF8C4F7C
.long 0xD3B24020, 0x1802A920
.long 0xD3B24022, 0x1802AD22
.long 0xD3B24024, 0x1802B124
.long 0xD3B24026, 0x1802B526
.long 0x81858105
.long 0xBF05CE05
.long 0xBF8504D5
.long 0x805C565C
.long 0x825D575D
.long 0xD0C60058, 0x00000A80
.long 0xD100000C, 0x01621706
.long 0xD100000D, 0x01621708
.long 0xE05CD000, 0x8017540C
.long 0xE05CD000, 0x8017580D
.long 0xBF8C4F7C
.long 0xD3B24020, 0x1802B920
.long 0xD3B24022, 0x1802BD22
.long 0xD3B24024, 0x1802C124
.long 0xD3B24026, 0x1802C526
.long 0x81858105
.long 0xBF05CE05
.long 0xBF8504BD
.long 0x805C565C
.long 0x825D575D
.long 0xD0C60058, 0x00000A80
.long 0xD100000C, 0x01621706
.long 0xD100000D, 0x01621708
.long 0xE05CD000, 0x80175C0C
.long 0xE05CD000, 0x8017600D
.long 0xBF8C4F7C
.long 0xD3B24020, 0x1802C920
.long 0xD3B24022, 0x1802CD22
.long 0xD3B24024, 0x1802D124
.long 0xD3B24026, 0x1802D526
.long 0x81858105
.long 0xBF05CE05
.long 0xBF8504A5
.long 0x805C565C
.long 0x825D575D
.long 0xD0C60058, 0x00000A80
.long 0xD100000C, 0x01621706
.long 0xD100000D, 0x01621708
.long 0xE05CD000, 0x8017640C
.long 0xE05CD000, 0x8017680D
.long 0xBF8C4F7C
.long 0xD3B24020, 0x1802D920
.long 0xD3B24022, 0x1802DD22
.long 0xD3B24024, 0x1802E124
.long 0xD3B24026, 0x1802E526
.long 0x81858105
.long 0xBF05CE05
.long 0xBF85048D
.long 0x805C565C
.long 0x825D575D
.long 0xD0C60058, 0x00000A80
.long 0xD100000C, 0x01621706
.long 0xD100000D, 0x01621708
.long 0xE05CD000, 0x80176C0C
.long 0xE05CD000, 0x8017700D
.long 0xBF8C4F7C
.long 0xD3B24020, 0x1802E920
.long 0xD3B24022, 0x1802ED22
.long 0xD3B24024, 0x1802F124
.long 0xD3B24026, 0x1802F526
.long 0x81858105
.long 0xBF05CE05
.long 0xBF850475
.long 0x805C565C
.long 0x825D575D
.long 0xD0C60058, 0x00000A80
.long 0xD100000C, 0x01621706
.long 0xD100000D, 0x01621708
.long 0xE05CD000, 0x8017740C
.long 0xE05CD000, 0x8017780D
.long 0xBF8C4F7C
.long 0xD3B24020, 0x1802F920
.long 0xD3B24022, 0x1802FD22
.long 0xD3B24024, 0x18030124
.long 0xD3B24026, 0x18030526
.long 0x81858105
.long 0xBF05CE05
.long 0xBF85045D
.long 0x805C565C
.long 0x825D575D
.long 0xD0C60058, 0x00000A80
.long 0xD100000C, 0x01621706
.long 0xD100000D, 0x01621708
.long 0xE05CD000, 0x80177C0C
.long 0xE05CD000, 0x8017800D
.long 0xBF8C4F7C
.long 0xD3B24020, 0x18030920
.long 0xD3B24022, 0x18030D22
.long 0xD3B24024, 0x18031124
.long 0xD3B24026, 0x18031526
.long 0x81858105
.long 0xBF05CE05
.long 0xBF850445
.long 0x805C565C
.long 0x825D575D
.long 0xD0C60058, 0x00000A80
.long 0xD100000C, 0x01621706
.long 0xD100000D, 0x01621708
.long 0xE05CD000, 0x8017840C
.long 0xE05CD000, 0x8017880D
.long 0xBF8C4F7C
.long 0xD3B24020, 0x18031920
.long 0xD3B24022, 0x18031D22
.long 0xD3B24024, 0x18032124
.long 0xD3B24026, 0x18032526
.long 0x81858105
.long 0xBF05CE05
.long 0xBF85042D
.long 0x805C565C
.long 0x825D575D
.long 0xD0C60058, 0x00000A80
.long 0xD100000C, 0x01621706
.long 0xD100000D, 0x01621708
.long 0xE05CD000, 0x80178C0C
.long 0xE05CD000, 0x8017900D
.long 0xBF8C4F7C
.long 0xD3B24020, 0x18032920
.long 0xD3B24022, 0x18032D22
.long 0xD3B24024, 0x18033124
.long 0xD3B24026, 0x18033526
.long 0x81858105
.long 0xBF05CE05
.long 0xBF850415
.long 0x805C565C
.long 0x825D575D
.long 0xD0C60058, 0x00000A80
.long 0xD100000C, 0x01621706
.long 0xD100000D, 0x01621708
.long 0xE05CD000, 0x8017940C
.long 0xE05CD000, 0x8017980D
.long 0xBF8C4F7C
.long 0xD3B24020, 0x18033920
.long 0xD3B24022, 0x18033D22
.long 0xD3B24024, 0x18034124
.long 0xD3B24026, 0x18034526
.long 0x81858105
.long 0xBF05CE05
.long 0xBF8503FD
.long 0x805C565C
.long 0x825D575D
.long 0xD0C60058, 0x00000A80
.long 0xD100000C, 0x01621706
.long 0xD100000D, 0x01621708
.long 0xE05CD000, 0x80179C0C
.long 0xE05CD000, 0x8017A00D
.long 0xBF8C4F7C
.long 0xD3B24020, 0x18034920
.long 0xD3B24022, 0x18034D22
.long 0xD3B24024, 0x18035124
.long 0xD3B24026, 0x18035526
.long 0x81858105
.long 0xBF05CE05
.long 0xBF8503E5
.long 0x805C565C
.long 0x825D575D
.long 0xD0C60058, 0x00000A80
.long 0xD100000C, 0x01621706
.long 0xD100000D, 0x01621708
.long 0xE05CD000, 0x8017A40C
.long 0xE05CD000, 0x8017A80D
.long 0xBF8C4F7C
.long 0xD3B24020, 0x18035920
.long 0xD3B24022, 0x18035D22
.long 0xD3B24024, 0x18036124
.long 0xD3B24026, 0x18036526
.long 0x81858105
.long 0xBF05CE05
.long 0xBF8503CD
.long 0x805C565C
.long 0x825D575D
.long 0xD0C60058, 0x00000A80
.long 0xD100000C, 0x01621706
.long 0xD100000D, 0x01621708
.long 0xE05CD000, 0x8017AC0C
.long 0xE05CD000, 0x8017B00D
.long 0xBF02CE05
.long 0xBF85FE96
	;; [unrolled: 1-line block ×3, first 2 shown]
.long 0xD3B24020, 0x18027920
.long 0xD3B24022, 0x18027D22
.long 0xD3B24024, 0x18028124
.long 0xD3B24026, 0x18028526
.long 0xBF8C4F78
.long 0xD3B24020, 0x18028920
.long 0xD3B24022, 0x18028D22
.long 0xD3B24024, 0x18029124
.long 0xD3B24026, 0x18029526
.long 0xBF8C4F76
	;; [unrolled: 5-line block ×14, first 2 shown]
.long 0xBF8C4F78
.long 0xD3B24020, 0x18027920
.long 0xD3B24022, 0x18027D22
.long 0xD3B24024, 0x18028124
.long 0xD3B24026, 0x18028526
.long 0xBF8C4F76
.long 0xD3B24020, 0x18028920
.long 0xD3B24022, 0x18028D22
.long 0xD3B24024, 0x18029124
.long 0xD3B24026, 0x18029526
	;; [unrolled: 5-line block ×13, first 2 shown]
.long 0xBF8202CA
.long 0xBF8C4F76
.long 0xD3B24020, 0x18027920
.long 0xD3B24022, 0x18027D22
.long 0xD3B24024, 0x18028124
.long 0xD3B24026, 0x18028526
.long 0xBF8C4F74
.long 0xD3B24020, 0x18028920
.long 0xD3B24022, 0x18028D22
.long 0xD3B24024, 0x18029124
.long 0xD3B24026, 0x18029526
	;; [unrolled: 5-line block ×12, first 2 shown]
.long 0xBF82025D
.long 0xBF8C4F74
.long 0xD3B24020, 0x18027920
.long 0xD3B24022, 0x18027D22
.long 0xD3B24024, 0x18028124
.long 0xD3B24026, 0x18028526
.long 0xBF8C4F72
.long 0xD3B24020, 0x18028920
.long 0xD3B24022, 0x18028D22
.long 0xD3B24024, 0x18029124
.long 0xD3B24026, 0x18029526
	;; [unrolled: 5-line block ×11, first 2 shown]
.long 0xBF8201F9
.long 0xBF8C4F72
.long 0xD3B24020, 0x18027920
.long 0xD3B24022, 0x18027D22
.long 0xD3B24024, 0x18028124
.long 0xD3B24026, 0x18028526
.long 0xBF8C4F70
.long 0xD3B24020, 0x18028920
.long 0xD3B24022, 0x18028D22
.long 0xD3B24024, 0x18029124
.long 0xD3B24026, 0x18029526
	;; [unrolled: 5-line block ×10, first 2 shown]
.long 0xBF82019E
.long 0xBF8C4F70
.long 0xD3B24020, 0x18027920
.long 0xD3B24022, 0x18027D22
.long 0xD3B24024, 0x18028124
.long 0xD3B24026, 0x18028526
.long 0xBF8C0F7E
.long 0xD3B24020, 0x18028920
.long 0xD3B24022, 0x18028D22
.long 0xD3B24024, 0x18029124
.long 0xD3B24026, 0x18029526
	;; [unrolled: 5-line block ×9, first 2 shown]
.long 0xBF82014C
.long 0xBF8C0F7E
.long 0xD3B24020, 0x18027920
.long 0xD3B24022, 0x18027D22
.long 0xD3B24024, 0x18028124
.long 0xD3B24026, 0x18028526
.long 0xBF8C0F7C
.long 0xD3B24020, 0x18028920
.long 0xD3B24022, 0x18028D22
.long 0xD3B24024, 0x18029124
.long 0xD3B24026, 0x18029526
	;; [unrolled: 5-line block ×8, first 2 shown]
.long 0xBF820103
.long 0xBF8C0F7C
.long 0xD3B24020, 0x18027920
.long 0xD3B24022, 0x18027D22
.long 0xD3B24024, 0x18028124
.long 0xD3B24026, 0x18028526
.long 0xBF8C0F7A
.long 0xD3B24020, 0x18028920
.long 0xD3B24022, 0x18028D22
.long 0xD3B24024, 0x18029124
.long 0xD3B24026, 0x18029526
.long 0xBF8C0F78
.long 0xD3B24020, 0x18029920
.long 0xD3B24022, 0x18029D22
.long 0xD3B24024, 0x1802A124
.long 0xD3B24026, 0x1802A526
.long 0xBF8C0F76
.long 0xD3B24020, 0x1802A920
.long 0xD3B24022, 0x1802AD22
.long 0xD3B24024, 0x1802B124
.long 0xD3B24026, 0x1802B526
.long 0xBF8C0F74
.long 0xD3B24020, 0x1802B920
.long 0xD3B24022, 0x1802BD22
.long 0xD3B24024, 0x1802C124
.long 0xD3B24026, 0x1802C526
.long 0xBF8C0F72
.long 0xD3B24020, 0x1802C920
.long 0xD3B24022, 0x1802CD22
.long 0xD3B24024, 0x1802D124
.long 0xD3B24026, 0x1802D526
.long 0xBF8C0F70
.long 0xD3B24020, 0x1802D920
.long 0xD3B24022, 0x1802DD22
.long 0xD3B24024, 0x1802E124
.long 0xD3B24026, 0x1802E526
.long 0xBF8200C3
.long 0xBF8C0F7A
.long 0xD3B24020, 0x18027920
.long 0xD3B24022, 0x18027D22
.long 0xD3B24024, 0x18028124
.long 0xD3B24026, 0x18028526
.long 0xBF8C0F78
.long 0xD3B24020, 0x18028920
.long 0xD3B24022, 0x18028D22
.long 0xD3B24024, 0x18029124
.long 0xD3B24026, 0x18029526
	;; [unrolled: 5-line block ×6, first 2 shown]
.long 0xBF82008C
.long 0xBF8C0F78
.long 0xD3B24020, 0x18027920
.long 0xD3B24022, 0x18027D22
.long 0xD3B24024, 0x18028124
.long 0xD3B24026, 0x18028526
.long 0xBF8C0F76
.long 0xD3B24020, 0x18028920
.long 0xD3B24022, 0x18028D22
.long 0xD3B24024, 0x18029124
.long 0xD3B24026, 0x18029526
	;; [unrolled: 5-line block ×5, first 2 shown]
.long 0xBF82005E
.long 0xBF8C0F76
.long 0xD3B24020, 0x18027920
.long 0xD3B24022, 0x18027D22
.long 0xD3B24024, 0x18028124
.long 0xD3B24026, 0x18028526
.long 0xBF8C0F74
.long 0xD3B24020, 0x18028920
.long 0xD3B24022, 0x18028D22
.long 0xD3B24024, 0x18029124
.long 0xD3B24026, 0x18029526
	;; [unrolled: 5-line block ×4, first 2 shown]
.long 0xBF820039
.long 0xBF8C0F74
.long 0xD3B24020, 0x18027920
.long 0xD3B24022, 0x18027D22
.long 0xD3B24024, 0x18028124
.long 0xD3B24026, 0x18028526
.long 0xBF8C0F72
.long 0xD3B24020, 0x18028920
.long 0xD3B24022, 0x18028D22
.long 0xD3B24024, 0x18029124
.long 0xD3B24026, 0x18029526
	;; [unrolled: 5-line block ×3, first 2 shown]
.long 0xBF82001D
.long 0xBF8C0F72
.long 0xD3B24020, 0x18027920
.long 0xD3B24022, 0x18027D22
	;; [unrolled: 1-line block ×4, first 2 shown]
.long 0xBF8C0F70
.long 0xD3B24020, 0x18028920
.long 0xD3B24022, 0x18028D22
	;; [unrolled: 1-line block ×4, first 2 shown]
.long 0xBF82000A
.long 0xBF8C0F70
.long 0xD3B24020, 0x18027920
.long 0xD3B24022, 0x18027D22
	;; [unrolled: 1-line block ×4, first 2 shown]
.long 0xBF820000
.long 0x0A404030
	;; [unrolled: 1-line block ×9, first 2 shown]
.long 0xD0CC0038, 0x0001004A
.long 0xD1000018, 0x00E230F2
	;; [unrolled: 1-line block ×20, first 2 shown]
.long 0x0A40403E
.long 0x0A4040FF, 0x4038AA3B
.long 0x7E404120
.long 0xBF800000
.long 0x024040F2
.long 0x7E404520
.long 0xBF800000
.long 0xD1CB0020, 0x03CA40F5
.long 0x0A40403F
.long 0x0A42423E
.long 0x0A4242FF, 0x4038AA3B
.long 0x7E424121
.long 0xBF800000
.long 0x024242F2
.long 0x7E424521
.long 0xBF800000
.long 0xD1CB0021, 0x03CA42F5
.long 0x0A42423F
	;; [unrolled: 9-line block ×8, first 2 shown]
.long 0x7E401520
.long 0x7E421521
.long 0xD2A00020, 0x00024320
.long 0x7E441522
.long 0x7E461523
.long 0xD2A00021, 0x00024722
.long 0xE074D000, 0x80142007
	;; [unrolled: 1-line block ×3, first 2 shown]
.long 0x680E0F08
.long 0x7E481524
	;; [unrolled: 1-line block ×3, first 2 shown]
.long 0xD2A00022, 0x00024B24
.long 0x7E4C1526
.long 0x7E4E1527
.long 0xD2A00023, 0x00024F26
.long 0xE074D000, 0x80142207
.long 0xBF800000
.long 0xBF800000
	;; [unrolled: 1-line block ×3, first 2 shown]
.long 0xD1FE0006, 0x020A0103
.long 0xD1FE0007, 0x02060103
	;; [unrolled: 1-line block ×10, first 2 shown]
.long 0xBF800001
.long 0xE07CD000, 0x80032006
.long 0xE07CD010, 0x80032406
.long 0xBF800000
.long 0x92541415
	;; [unrolled: 1-line block ×16, first 2 shown]
.long 0xC2330CCC, 0x00000000
.long 0x965B811C
.long 0x925A811C
	;; [unrolled: 1-line block ×15, first 2 shown]
.long 0x7E1602FF, 0x80000000
.long 0xBEDC0016
.long 0xBEDD0017
	;; [unrolled: 1-line block ×9, first 2 shown]
.long 0xD2850001, 0x00020290
.long 0x260ACCBF
.long 0x200A0A83
	;; [unrolled: 1-line block ×3, first 2 shown]
.long 0xD2850002, 0x00005501
.long 0xD2850003, 0x00005101
.long 0x260A0883
.long 0xD2850005, 0x00020AA0
.long 0x2600CC87
.long 0x24000082
	;; [unrolled: 1-line block ×3, first 2 shown]
.long 0x923302FF, 0x00000080
.long 0x68000033
.long 0x92330390
	;; [unrolled: 1-line block ×3, first 2 shown]
.long 0xD1FE0006, 0x020A0103
.long 0xD1FE0007, 0x02060103
.long 0xD2850008, 0x000050A0
.long 0x68100D08
.long 0x924202FF, 0x00000080
.long 0xD1350009, 0x00008500
.long 0x24121282
.long 0xBF8CC07F
	;; [unrolled: 1-line block ×3, first 2 shown]
.long 0xD9FE0000, 0x10000009
.long 0xD9FE0000, 0x14000009
.long 0x24140082
.long 0xE05C1000, 0x8012180A
.long 0xE05C1000, 0x80121C0A
	;; [unrolled: 1-line block ×4, first 2 shown]
.long 0xBE850032
.long 0x81858105
	;; [unrolled: 1-line block ×6, first 2 shown]
.long 0xE05CD000, 0x80173C06
.long 0xE05CD000, 0x80174008
.long 0x81858105
.long 0x805C565C
.long 0x825D575D
.long 0xBF008005
.long 0xBF850598
.long 0xE05CD000, 0x80174406
.long 0xE05CD000, 0x80174808
.long 0x81858105
.long 0x805C565C
.long 0x825D575D
.long 0xBF008005
.long 0xBF85057C
	;; [unrolled: 7-line block ×14, first 2 shown]
.long 0xE05CD000, 0x8017AC06
.long 0xE05CD000, 0x8017B008
.long 0xBF8C4F7C
.long 0xD3B24020, 0x18027920
.long 0xD3B24022, 0x18027D22
.long 0xD3B24024, 0x18028124
.long 0xD3B24026, 0x18028526
.long 0x81858105
.long 0xBF05CE05
.long 0xBF85051D
.long 0x805C565C
.long 0x825D575D
.long 0xD0C60058, 0x00000A80
.long 0xD100000C, 0x01621706
.long 0xD100000D, 0x01621708
.long 0xE05CD000, 0x80173C0C
.long 0xE05CD000, 0x8017400D
.long 0xBF8C4F7C
.long 0xD3B24020, 0x18028920
.long 0xD3B24022, 0x18028D22
.long 0xD3B24024, 0x18029124
.long 0xD3B24026, 0x18029526
.long 0x81858105
.long 0xBF05CE05
.long 0xBF850505
.long 0x805C565C
.long 0x825D575D
.long 0xD0C60058, 0x00000A80
.long 0xD100000C, 0x01621706
.long 0xD100000D, 0x01621708
	;; [unrolled: 15-line block ×15, first 2 shown]
.long 0xE05CD000, 0x8017AC0C
.long 0xE05CD000, 0x8017B00D
.long 0xBF02CE05
.long 0xBF85FE96
	;; [unrolled: 1-line block ×3, first 2 shown]
.long 0xD3B24020, 0x18027920
.long 0xD3B24022, 0x18027D22
.long 0xD3B24024, 0x18028124
.long 0xD3B24026, 0x18028526
.long 0xBF8C4F78
.long 0xD3B24020, 0x18028920
.long 0xD3B24022, 0x18028D22
.long 0xD3B24024, 0x18029124
.long 0xD3B24026, 0x18029526
.long 0xBF8C4F76
	;; [unrolled: 5-line block ×14, first 2 shown]
.long 0xBF8C4F78
.long 0xD3B24020, 0x18027920
.long 0xD3B24022, 0x18027D22
.long 0xD3B24024, 0x18028124
.long 0xD3B24026, 0x18028526
.long 0xBF8C4F76
.long 0xD3B24020, 0x18028920
.long 0xD3B24022, 0x18028D22
.long 0xD3B24024, 0x18029124
.long 0xD3B24026, 0x18029526
	;; [unrolled: 5-line block ×13, first 2 shown]
.long 0xBF8202CA
.long 0xBF8C4F76
.long 0xD3B24020, 0x18027920
.long 0xD3B24022, 0x18027D22
.long 0xD3B24024, 0x18028124
.long 0xD3B24026, 0x18028526
.long 0xBF8C4F74
.long 0xD3B24020, 0x18028920
.long 0xD3B24022, 0x18028D22
.long 0xD3B24024, 0x18029124
.long 0xD3B24026, 0x18029526
	;; [unrolled: 5-line block ×12, first 2 shown]
.long 0xBF82025D
.long 0xBF8C4F74
.long 0xD3B24020, 0x18027920
.long 0xD3B24022, 0x18027D22
.long 0xD3B24024, 0x18028124
.long 0xD3B24026, 0x18028526
.long 0xBF8C4F72
.long 0xD3B24020, 0x18028920
.long 0xD3B24022, 0x18028D22
.long 0xD3B24024, 0x18029124
.long 0xD3B24026, 0x18029526
	;; [unrolled: 5-line block ×11, first 2 shown]
.long 0xBF8201F9
.long 0xBF8C4F72
.long 0xD3B24020, 0x18027920
.long 0xD3B24022, 0x18027D22
.long 0xD3B24024, 0x18028124
.long 0xD3B24026, 0x18028526
.long 0xBF8C4F70
.long 0xD3B24020, 0x18028920
.long 0xD3B24022, 0x18028D22
.long 0xD3B24024, 0x18029124
.long 0xD3B24026, 0x18029526
	;; [unrolled: 5-line block ×10, first 2 shown]
.long 0xBF82019E
.long 0xBF8C4F70
.long 0xD3B24020, 0x18027920
.long 0xD3B24022, 0x18027D22
.long 0xD3B24024, 0x18028124
.long 0xD3B24026, 0x18028526
.long 0xBF8C0F7E
.long 0xD3B24020, 0x18028920
.long 0xD3B24022, 0x18028D22
.long 0xD3B24024, 0x18029124
.long 0xD3B24026, 0x18029526
	;; [unrolled: 5-line block ×9, first 2 shown]
.long 0xBF82014C
.long 0xBF8C0F7E
.long 0xD3B24020, 0x18027920
.long 0xD3B24022, 0x18027D22
.long 0xD3B24024, 0x18028124
.long 0xD3B24026, 0x18028526
.long 0xBF8C0F7C
.long 0xD3B24020, 0x18028920
.long 0xD3B24022, 0x18028D22
.long 0xD3B24024, 0x18029124
.long 0xD3B24026, 0x18029526
	;; [unrolled: 5-line block ×8, first 2 shown]
.long 0xBF820103
.long 0xBF8C0F7C
.long 0xD3B24020, 0x18027920
.long 0xD3B24022, 0x18027D22
.long 0xD3B24024, 0x18028124
.long 0xD3B24026, 0x18028526
.long 0xBF8C0F7A
.long 0xD3B24020, 0x18028920
.long 0xD3B24022, 0x18028D22
.long 0xD3B24024, 0x18029124
.long 0xD3B24026, 0x18029526
	;; [unrolled: 5-line block ×7, first 2 shown]
.long 0xBF8200C3
.long 0xBF8C0F7A
.long 0xD3B24020, 0x18027920
.long 0xD3B24022, 0x18027D22
.long 0xD3B24024, 0x18028124
.long 0xD3B24026, 0x18028526
.long 0xBF8C0F78
.long 0xD3B24020, 0x18028920
.long 0xD3B24022, 0x18028D22
.long 0xD3B24024, 0x18029124
.long 0xD3B24026, 0x18029526
.long 0xBF8C0F76
.long 0xD3B24020, 0x18029920
.long 0xD3B24022, 0x18029D22
.long 0xD3B24024, 0x1802A124
.long 0xD3B24026, 0x1802A526
.long 0xBF8C0F74
.long 0xD3B24020, 0x1802A920
.long 0xD3B24022, 0x1802AD22
.long 0xD3B24024, 0x1802B124
.long 0xD3B24026, 0x1802B526
.long 0xBF8C0F72
.long 0xD3B24020, 0x1802B920
.long 0xD3B24022, 0x1802BD22
.long 0xD3B24024, 0x1802C124
.long 0xD3B24026, 0x1802C526
.long 0xBF8C0F70
.long 0xD3B24020, 0x1802C920
.long 0xD3B24022, 0x1802CD22
.long 0xD3B24024, 0x1802D124
.long 0xD3B24026, 0x1802D526
.long 0xBF82008C
.long 0xBF8C0F78
.long 0xD3B24020, 0x18027920
.long 0xD3B24022, 0x18027D22
.long 0xD3B24024, 0x18028124
.long 0xD3B24026, 0x18028526
.long 0xBF8C0F76
.long 0xD3B24020, 0x18028920
.long 0xD3B24022, 0x18028D22
.long 0xD3B24024, 0x18029124
.long 0xD3B24026, 0x18029526
	;; [unrolled: 5-line block ×5, first 2 shown]
.long 0xBF82005E
.long 0xBF8C0F76
.long 0xD3B24020, 0x18027920
.long 0xD3B24022, 0x18027D22
.long 0xD3B24024, 0x18028124
.long 0xD3B24026, 0x18028526
.long 0xBF8C0F74
.long 0xD3B24020, 0x18028920
.long 0xD3B24022, 0x18028D22
.long 0xD3B24024, 0x18029124
.long 0xD3B24026, 0x18029526
	;; [unrolled: 5-line block ×4, first 2 shown]
.long 0xBF820039
.long 0xBF8C0F74
.long 0xD3B24020, 0x18027920
.long 0xD3B24022, 0x18027D22
.long 0xD3B24024, 0x18028124
.long 0xD3B24026, 0x18028526
.long 0xBF8C0F72
.long 0xD3B24020, 0x18028920
.long 0xD3B24022, 0x18028D22
.long 0xD3B24024, 0x18029124
.long 0xD3B24026, 0x18029526
	;; [unrolled: 5-line block ×3, first 2 shown]
.long 0xBF82001D
.long 0xBF8C0F72
.long 0xD3B24020, 0x18027920
.long 0xD3B24022, 0x18027D22
	;; [unrolled: 1-line block ×4, first 2 shown]
.long 0xBF8C0F70
.long 0xD3B24020, 0x18028920
.long 0xD3B24022, 0x18028D22
	;; [unrolled: 1-line block ×4, first 2 shown]
.long 0xBF82000A
.long 0xBF8C0F70
.long 0xD3B24020, 0x18027920
.long 0xD3B24022, 0x18027D22
	;; [unrolled: 1-line block ×4, first 2 shown]
.long 0xBF820000
.long 0x0A404030
	;; [unrolled: 1-line block ×9, first 2 shown]
.long 0xD0CC0038, 0x0001004A
.long 0xD1000018, 0x00E230F2
	;; [unrolled: 1-line block ×22, first 2 shown]
.long 0x0A080920
.long 0x0A0808FF, 0x40135761
.long 0x7E084104
.long 0xBF800000
.long 0x020808F2
.long 0x7E084504
.long 0xBF800000
.long 0xD1CB0004, 0x03D208F5
.long 0x0A080920
.long 0x0A0808F0
.long 0x0A40083E
.long 0x0A0842FF, 0x3D372713
.long 0xD1CB0004, 0x03CA0921
.long 0x0A080921
.long 0x0A0808FF, 0x40135761
.long 0x7E084104
.long 0xBF800000
.long 0x020808F2
.long 0x7E084504
.long 0xBF800000
.long 0xD1CB0004, 0x03D208F5
.long 0x0A080921
.long 0x0A0808F0
.long 0x0A42083E
.long 0x0A0844FF, 0x3D372713
.long 0xD1CB0004, 0x03CA0922
	;; [unrolled: 13-line block ×7, first 2 shown]
.long 0x0A080927
.long 0x0A0808FF, 0x40135761
.long 0x7E084104
.long 0xBF800000
.long 0x020808F2
.long 0x7E084504
.long 0xBF800000
.long 0xD1CB0004, 0x03D208F5
.long 0x0A080927
.long 0x0A0808F0
	;; [unrolled: 1-line block ×5, first 2 shown]
.long 0xD2A00020, 0x00024320
.long 0x7E441522
.long 0x7E461523
.long 0xD2A00021, 0x00024722
.long 0xE074D000, 0x80142007
	;; [unrolled: 1-line block ×3, first 2 shown]
.long 0x680E0F08
.long 0x7E481524
.long 0x7E4A1525
.long 0xD2A00022, 0x00024B24
.long 0x7E4C1526
.long 0x7E4E1527
.long 0xD2A00023, 0x00024F26
.long 0xE074D000, 0x80142207
.long 0xBF800000
.long 0xBF800000
	;; [unrolled: 1-line block ×3, first 2 shown]
.long 0x815684FF, 0x0006232C
.long 0x80545654
.long 0x82558055
	;; [unrolled: 1-line block ×16, first 2 shown]
.long 0x815684FF, 0x00016FFC
.long 0x80545654
.long 0x82558055
.long 0xBE801D54
.long 0xB4400006
.long 0xBF840006
.long 0xBED41C00
.long 0x815684FF, 0x0001B8E4
.long 0x80545654
.long 0x82558055
.long 0xBE801D54
.long 0xB4400007
.long 0xBF840006
.long 0xBED41C00
	;; [unrolled: 7-line block ×3, first 2 shown]
.long 0x815684FF, 0x00024C74
.long 0x80545654
.long 0x82558055
	;; [unrolled: 1-line block ×3, first 2 shown]
.long 0x7E7C02FF, 0x80000000
.long 0xD0C90054, 0x00003900
	;; [unrolled: 1-line block ×3, first 2 shown]
.long 0x86D85854
.long 0x925402FF, 0x00000080
.long 0xD1350008, 0x0000A900
.long 0x24101082
.long 0xD1000008, 0x0162113E
.long 0xBF8CC07F
.long 0xBF8A0000
.long 0xD86C0000, 0x0A000008
.long 0x24120082
.long 0xE0501000, 0x80120B09
.long 0xD1FE0006, 0x020A0103
.long 0xD1000006, 0x01620D3E
.long 0xD1FE0007, 0x02060103
.long 0xD1000007, 0x01620F3E
.long 0xD1196A04, 0x00010300
.long 0xD0C90054, 0x00003904
.long 0xD0C90058, 0x00003B01
.long 0x86D85854
.long 0x925402FF, 0x00000080
.long 0xD135000F, 0x0000A904
.long 0x241E1E82
.long 0xD100000F, 0x01621F3E
.long 0xD86C0000, 0x1100000F
.long 0x24200882
.long 0xE0501000, 0x80121210
.long 0xD1FE000D, 0x020A0903
.long 0xD100000D, 0x01621B3E
.long 0xD1FE000E, 0x02060903
.long 0xD100000E, 0x01621D3E
.long 0xD1196A04, 0x00010500
.long 0xD0C90054, 0x00003904
.long 0xD0C90058, 0x00003B01
.long 0x86D85854
.long 0x925402FF, 0x00000080
.long 0xD1350016, 0x0000A904
.long 0x242C2C82
.long 0xD1000016, 0x01622D3E
	;; [unrolled: 15-line block ×7, first 2 shown]
.long 0xD86C0000, 0x3B000039
.long 0x24740882
.long 0xE0501000, 0x80123C3A
.long 0xD1FE0037, 0x020A0903
	;; [unrolled: 1-line block ×13, first 2 shown]
.long 0xBF800001
.long 0xE070D000, 0x80030C06
.long 0xE070D000, 0x8003130D
	;; [unrolled: 1-line block ×8, first 2 shown]
.long 0xBF800000
.long 0x92421415
	;; [unrolled: 1-line block ×16, first 2 shown]
.long 0xC2330CCC, 0x00000000
.long 0x965F811C
.long 0x925E811C
	;; [unrolled: 1-line block ×15, first 2 shown]
.long 0x7E7C02FF, 0x80000000
.long 0xBEE00016
.long 0xBEE10017
	;; [unrolled: 1-line block ×7, first 2 shown]
.long 0xE050D000, 0x80180C06
.long 0xBE850032
.long 0x81858105
	;; [unrolled: 1-line block ×6, first 2 shown]
.long 0xE050D000, 0x80186806
.long 0x81858105
.long 0x80605A60
.long 0x82615B61
.long 0xBF008005
.long 0xBF8501FF
.long 0xE050D000, 0x80187006
.long 0x81858105
.long 0x80605A60
.long 0x82615B61
.long 0xBF008005
.long 0xBF8501F3
	;; [unrolled: 6-line block ×15, first 2 shown]
.long 0x80605A60
.long 0x82615B61
.long 0xD0C6005C, 0x00000A80
.long 0xD100003F, 0x01727D06
.long 0xE050D000, 0x8018683F
.long 0xBF8C0F7E
.long 0x0218E10C
.long 0x81858105
.long 0xBF05CE05
.long 0xBF850193
.long 0x80605A60
.long 0x82615B61
.long 0xD0C6005C, 0x00000A80
.long 0xD100003F, 0x01727D06
.long 0xE050D000, 0x8018703F
.long 0xBF8C0F7E
.long 0x0218F10C
.long 0x81858105
.long 0xBF05CE05
.long 0xBF850186
	;; [unrolled: 10-line block ×15, first 2 shown]
.long 0x0218E10C
.long 0xBF8C0F7B
	;; [unrolled: 1-line block ×221, first 2 shown]
.long 0x7E7C02FF, 0x80000000
.long 0xBEE00016
.long 0xBEE10017
	;; [unrolled: 1-line block ×4, first 2 shown]
.long 0xE050D000, 0x8018130D
.long 0xBE850032
.long 0x81858105
	;; [unrolled: 1-line block ×6, first 2 shown]
.long 0xE050D000, 0x8018680D
.long 0x81858105
.long 0x80605A60
.long 0x82615B61
.long 0xBF008005
.long 0xBF8501FF
.long 0xE050D000, 0x8018700D
.long 0x81858105
.long 0x80605A60
.long 0x82615B61
.long 0xBF008005
.long 0xBF8501F3
	;; [unrolled: 6-line block ×15, first 2 shown]
.long 0x80605A60
.long 0x82615B61
.long 0xD0C6005C, 0x00000A80
.long 0xD100003F, 0x01727D0D
.long 0xE050D000, 0x8018683F
.long 0xBF8C0F7E
.long 0x0226E113
.long 0x81858105
.long 0xBF05CE05
.long 0xBF850193
.long 0x80605A60
.long 0x82615B61
.long 0xD0C6005C, 0x00000A80
.long 0xD100003F, 0x01727D0D
.long 0xE050D000, 0x8018703F
.long 0xBF8C0F7E
.long 0x0226F113
.long 0x81858105
.long 0xBF05CE05
.long 0xBF850186
	;; [unrolled: 10-line block ×15, first 2 shown]
.long 0x0226E113
.long 0xBF8C0F7B
	;; [unrolled: 1-line block ×221, first 2 shown]
.long 0x7E7C02FF, 0x80000000
.long 0xBEE00016
.long 0xBEE10017
	;; [unrolled: 1-line block ×4, first 2 shown]
.long 0xE050D000, 0x80181A14
.long 0xBE850032
.long 0x81858105
	;; [unrolled: 1-line block ×6, first 2 shown]
.long 0xE050D000, 0x80186814
.long 0x81858105
.long 0x80605A60
.long 0x82615B61
.long 0xBF008005
.long 0xBF8501FF
.long 0xE050D000, 0x80187014
.long 0x81858105
.long 0x80605A60
.long 0x82615B61
.long 0xBF008005
.long 0xBF8501F3
	;; [unrolled: 6-line block ×15, first 2 shown]
.long 0x80605A60
.long 0x82615B61
.long 0xD0C6005C, 0x00000A80
.long 0xD100003F, 0x01727D14
.long 0xE050D000, 0x8018683F
.long 0xBF8C0F7E
.long 0x0234E11A
.long 0x81858105
.long 0xBF05CE05
.long 0xBF850193
.long 0x80605A60
.long 0x82615B61
.long 0xD0C6005C, 0x00000A80
.long 0xD100003F, 0x01727D14
.long 0xE050D000, 0x8018703F
.long 0xBF8C0F7E
.long 0x0234F11A
.long 0x81858105
.long 0xBF05CE05
.long 0xBF850186
	;; [unrolled: 10-line block ×15, first 2 shown]
.long 0x0234E11A
.long 0xBF8C0F7B
	;; [unrolled: 1-line block ×221, first 2 shown]
.long 0x7E7C02FF, 0x80000000
.long 0xBEE00016
.long 0xBEE10017
.long 0xBEE2000E
.long 0xBEE3000F
.long 0xE050D000, 0x8018211B
.long 0xBE850032
.long 0x81858105
	;; [unrolled: 1-line block ×6, first 2 shown]
.long 0xE050D000, 0x8018681B
.long 0x81858105
.long 0x80605A60
.long 0x82615B61
.long 0xBF008005
.long 0xBF8501FF
.long 0xE050D000, 0x8018701B
.long 0x81858105
.long 0x80605A60
.long 0x82615B61
.long 0xBF008005
.long 0xBF8501F3
	;; [unrolled: 6-line block ×15, first 2 shown]
.long 0x80605A60
.long 0x82615B61
.long 0xD0C6005C, 0x00000A80
.long 0xD100003F, 0x01727D1B
.long 0xE050D000, 0x8018683F
.long 0xBF8C0F7E
.long 0x0242E121
.long 0x81858105
.long 0xBF05CE05
.long 0xBF850193
.long 0x80605A60
.long 0x82615B61
.long 0xD0C6005C, 0x00000A80
.long 0xD100003F, 0x01727D1B
.long 0xE050D000, 0x8018703F
.long 0xBF8C0F7E
.long 0x0242F121
.long 0x81858105
.long 0xBF05CE05
.long 0xBF850186
	;; [unrolled: 10-line block ×15, first 2 shown]
.long 0x0242E121
.long 0xBF8C0F7B
	;; [unrolled: 1-line block ×221, first 2 shown]
.long 0x7E7C02FF, 0x80000000
.long 0xBEE00016
.long 0xBEE10017
	;; [unrolled: 1-line block ×4, first 2 shown]
.long 0xE050D000, 0x80182822
.long 0xBE850032
.long 0x81858105
	;; [unrolled: 1-line block ×6, first 2 shown]
.long 0xE050D000, 0x80186822
.long 0x81858105
.long 0x80605A60
.long 0x82615B61
.long 0xBF008005
.long 0xBF8501FF
.long 0xE050D000, 0x80187022
.long 0x81858105
.long 0x80605A60
.long 0x82615B61
.long 0xBF008005
.long 0xBF8501F3
	;; [unrolled: 6-line block ×15, first 2 shown]
.long 0x80605A60
.long 0x82615B61
.long 0xD0C6005C, 0x00000A80
.long 0xD100003F, 0x01727D22
.long 0xE050D000, 0x8018683F
.long 0xBF8C0F7E
.long 0x0250E128
.long 0x81858105
.long 0xBF05CE05
.long 0xBF850193
.long 0x80605A60
.long 0x82615B61
.long 0xD0C6005C, 0x00000A80
.long 0xD100003F, 0x01727D22
.long 0xE050D000, 0x8018703F
.long 0xBF8C0F7E
.long 0x0250F128
.long 0x81858105
.long 0xBF05CE05
.long 0xBF850186
	;; [unrolled: 10-line block ×15, first 2 shown]
.long 0x0250E128
.long 0xBF8C0F7B
	;; [unrolled: 1-line block ×221, first 2 shown]
.long 0x7E7C02FF, 0x80000000
.long 0xBEE00016
.long 0xBEE10017
	;; [unrolled: 1-line block ×4, first 2 shown]
.long 0xE050D000, 0x80182F29
.long 0xBE850032
.long 0x81858105
	;; [unrolled: 1-line block ×6, first 2 shown]
.long 0xE050D000, 0x80186829
.long 0x81858105
.long 0x80605A60
.long 0x82615B61
.long 0xBF008005
.long 0xBF8501FF
.long 0xE050D000, 0x80187029
.long 0x81858105
.long 0x80605A60
.long 0x82615B61
.long 0xBF008005
.long 0xBF8501F3
	;; [unrolled: 6-line block ×15, first 2 shown]
.long 0x80605A60
.long 0x82615B61
.long 0xD0C6005C, 0x00000A80
.long 0xD100003F, 0x01727D29
.long 0xE050D000, 0x8018683F
.long 0xBF8C0F7E
.long 0x025EE12F
.long 0x81858105
.long 0xBF05CE05
.long 0xBF850193
.long 0x80605A60
.long 0x82615B61
.long 0xD0C6005C, 0x00000A80
.long 0xD100003F, 0x01727D29
.long 0xE050D000, 0x8018703F
.long 0xBF8C0F7E
.long 0x025EF12F
.long 0x81858105
.long 0xBF05CE05
.long 0xBF850186
.long 0x80605A60
.long 0x82615B61
.long 0xD0C6005C, 0x00000A80
.long 0xD100003F, 0x01727D29
.long 0xE050D000, 0x8018783F
.long 0xBF8C0F7E
.long 0x025F012F
.long 0x81858105
.long 0xBF05CE05
.long 0xBF850179
.long 0x80605A60
.long 0x82615B61
.long 0xD0C6005C, 0x00000A80
.long 0xD100003F, 0x01727D29
.long 0xE050D000, 0x8018803F
.long 0xBF8C0F7E
.long 0x025F112F
.long 0x81858105
.long 0xBF05CE05
.long 0xBF85016C
.long 0x80605A60
.long 0x82615B61
.long 0xD0C6005C, 0x00000A80
.long 0xD100003F, 0x01727D29
.long 0xE050D000, 0x8018883F
.long 0xBF8C0F7E
.long 0x025F212F
.long 0x81858105
.long 0xBF05CE05
.long 0xBF85015F
.long 0x80605A60
.long 0x82615B61
.long 0xD0C6005C, 0x00000A80
.long 0xD100003F, 0x01727D29
.long 0xE050D000, 0x8018903F
.long 0xBF8C0F7E
.long 0x025F312F
.long 0x81858105
.long 0xBF05CE05
.long 0xBF850152
.long 0x80605A60
.long 0x82615B61
.long 0xD0C6005C, 0x00000A80
.long 0xD100003F, 0x01727D29
.long 0xE050D000, 0x8018983F
.long 0xBF8C0F7E
.long 0x025F412F
.long 0x81858105
.long 0xBF05CE05
.long 0xBF850145
.long 0x80605A60
.long 0x82615B61
.long 0xD0C6005C, 0x00000A80
.long 0xD100003F, 0x01727D29
.long 0xE050D000, 0x8018A03F
.long 0xBF8C0F7E
.long 0x025F512F
.long 0x81858105
.long 0xBF05CE05
.long 0xBF850138
.long 0x80605A60
.long 0x82615B61
.long 0xD0C6005C, 0x00000A80
.long 0xD100003F, 0x01727D29
.long 0xE050D000, 0x8018A83F
.long 0xBF8C0F7E
.long 0x025F612F
.long 0x81858105
.long 0xBF05CE05
.long 0xBF85012B
.long 0x80605A60
.long 0x82615B61
.long 0xD0C6005C, 0x00000A80
.long 0xD100003F, 0x01727D29
.long 0xE050D000, 0x8018B03F
.long 0xBF8C0F7E
.long 0x025F712F
.long 0x81858105
.long 0xBF05CE05
.long 0xBF85011E
.long 0x80605A60
.long 0x82615B61
.long 0xD0C6005C, 0x00000A80
.long 0xD100003F, 0x01727D29
.long 0xE050D000, 0x8018B83F
.long 0xBF8C0F7E
.long 0x025F812F
.long 0x81858105
.long 0xBF05CE05
.long 0xBF850111
.long 0x80605A60
.long 0x82615B61
.long 0xD0C6005C, 0x00000A80
.long 0xD100003F, 0x01727D29
.long 0xE050D000, 0x8018C03F
.long 0xBF8C0F7E
.long 0x025F912F
.long 0x81858105
.long 0xBF05CE05
.long 0xBF850104
.long 0x80605A60
.long 0x82615B61
.long 0xD0C6005C, 0x00000A80
.long 0xD100003F, 0x01727D29
.long 0xE050D000, 0x8018C83F
.long 0xBF8C0F7E
.long 0x025FA12F
.long 0x81858105
.long 0xBF05CE05
.long 0xBF8500F7
.long 0x80605A60
.long 0x82615B61
.long 0xD0C6005C, 0x00000A80
.long 0xD100003F, 0x01727D29
.long 0xE050D000, 0x8018D03F
.long 0xBF8C0F7E
.long 0x025FB12F
.long 0x81858105
.long 0xBF05CE05
.long 0xBF8500EA
.long 0x80605A60
.long 0x82615B61
.long 0xD0C6005C, 0x00000A80
.long 0xD100003F, 0x01727D29
.long 0xE050D000, 0x8018D83F
.long 0xBF02CE05
.long 0xBF85FF3B
.long 0xBF8C0F7D
.long 0x025ED12F
.long 0xBF8C0F7C
.long 0x025EE12F
.long 0xBF8C0F7B
	;; [unrolled: 1-line block ×221, first 2 shown]
.long 0x7E7C02FF, 0x80000000
.long 0xBEE00016
.long 0xBEE10017
	;; [unrolled: 1-line block ×4, first 2 shown]
.long 0xE050D000, 0x80183630
.long 0xBE850032
.long 0x81858105
	;; [unrolled: 1-line block ×6, first 2 shown]
.long 0xE050D000, 0x80186830
.long 0x81858105
.long 0x80605A60
.long 0x82615B61
.long 0xBF008005
.long 0xBF8501FF
.long 0xE050D000, 0x80187030
.long 0x81858105
.long 0x80605A60
.long 0x82615B61
.long 0xBF008005
.long 0xBF8501F3
	;; [unrolled: 6-line block ×15, first 2 shown]
.long 0x80605A60
.long 0x82615B61
.long 0xD0C6005C, 0x00000A80
.long 0xD100003F, 0x01727D30
.long 0xE050D000, 0x8018683F
.long 0xBF8C0F7E
.long 0x026CE136
.long 0x81858105
.long 0xBF05CE05
.long 0xBF850193
.long 0x80605A60
.long 0x82615B61
.long 0xD0C6005C, 0x00000A80
.long 0xD100003F, 0x01727D30
.long 0xE050D000, 0x8018703F
.long 0xBF8C0F7E
.long 0x026CF136
.long 0x81858105
.long 0xBF05CE05
.long 0xBF850186
	;; [unrolled: 10-line block ×15, first 2 shown]
.long 0x026CE136
.long 0xBF8C0F7B
	;; [unrolled: 1-line block ×221, first 2 shown]
.long 0x7E7C02FF, 0x80000000
.long 0xBEE00016
.long 0xBEE10017
	;; [unrolled: 1-line block ×4, first 2 shown]
.long 0xE050D000, 0x80183D37
.long 0xBE850032
.long 0x81858105
	;; [unrolled: 1-line block ×6, first 2 shown]
.long 0xE050D000, 0x80186837
.long 0x81858105
.long 0x80605A60
.long 0x82615B61
.long 0xBF008005
.long 0xBF8501FF
.long 0xE050D000, 0x80187037
.long 0x81858105
.long 0x80605A60
.long 0x82615B61
.long 0xBF008005
.long 0xBF8501F3
.long 0xE050D000, 0x80187837
.long 0x81858105
.long 0x80605A60
.long 0x82615B61
.long 0xBF008005
.long 0xBF8501E5
.long 0xE050D000, 0x80188037
.long 0x81858105
.long 0x80605A60
.long 0x82615B61
.long 0xBF008005
.long 0xBF8501D5
.long 0xE050D000, 0x80188837
.long 0x81858105
.long 0x80605A60
.long 0x82615B61
.long 0xBF008005
.long 0xBF8501C3
.long 0xE050D000, 0x80189037
.long 0x81858105
.long 0x80605A60
.long 0x82615B61
.long 0xBF008005
.long 0xBF8501AF
.long 0xE050D000, 0x80189837
.long 0x81858105
.long 0x80605A60
.long 0x82615B61
.long 0xBF008005
.long 0xBF850199
.long 0xE050D000, 0x8018A037
.long 0x81858105
.long 0x80605A60
.long 0x82615B61
.long 0xBF008005
.long 0xBF850181
.long 0xE050D000, 0x8018A837
.long 0x81858105
.long 0x80605A60
.long 0x82615B61
.long 0xBF008005
.long 0xBF850167
.long 0xE050D000, 0x8018B037
.long 0x81858105
.long 0x80605A60
.long 0x82615B61
.long 0xBF008005
.long 0xBF85014B
.long 0xE050D000, 0x8018B837
.long 0x81858105
.long 0x80605A60
.long 0x82615B61
.long 0xBF008005
.long 0xBF85012D
.long 0xE050D000, 0x8018C037
.long 0x81858105
.long 0x80605A60
.long 0x82615B61
.long 0xBF008005
.long 0xBF85010D
.long 0xE050D000, 0x8018C837
.long 0x81858105
.long 0x80605A60
.long 0x82615B61
.long 0xBF008005
.long 0xBF8500EB
.long 0xE050D000, 0x8018D037
.long 0x81858105
.long 0x80605A60
.long 0x82615B61
.long 0xBF008005
.long 0xBF8500C7
.long 0xE050D000, 0x8018D837
.long 0xBF8C0F7E
.long 0x027AD13D
.long 0x81858105
.long 0xBF05CE05
.long 0xBF8501A0
.long 0x80605A60
.long 0x82615B61
.long 0xD0C6005C, 0x00000A80
.long 0xD100003F, 0x01727D37
.long 0xE050D000, 0x8018683F
.long 0xBF8C0F7E
.long 0x027AE13D
.long 0x81858105
.long 0xBF05CE05
.long 0xBF850193
.long 0x80605A60
.long 0x82615B61
.long 0xD0C6005C, 0x00000A80
.long 0xD100003F, 0x01727D37
.long 0xE050D000, 0x8018703F
.long 0xBF8C0F7E
.long 0x027AF13D
.long 0x81858105
.long 0xBF05CE05
.long 0xBF850186
	;; [unrolled: 10-line block ×15, first 2 shown]
.long 0x027AE13D
.long 0xBF8C0F7B
	;; [unrolled: 1-line block ×230, first 2 shown]
.long 0xD0CC0038, 0x0001004A
.long 0xD100000B, 0x00E216F2
.long 0x0A18190B
.long 0x0218190A
.long 0x7E18150C
.long 0xE068D000, 0x80140C07
.long 0xBF800000
.long 0xD0CC0038, 0x0001004A
.long 0xD1000012, 0x00E224F2
.long 0x0A262712
.long 0x02262711
.long 0x7E261513
.long 0xE068D000, 0x8014130E
.long 0xBF800000
	;; [unrolled: 7-line block ×8, first 2 shown]
.long 0xBF800000
.long 0xBED41C00
.long 0x815684FF, 0x00024E7C
.long 0x80545654
.long 0x82558055
	;; [unrolled: 1-line block ×3, first 2 shown]
.long 0x7E7C02FF, 0x80000000
.long 0xD0C90054, 0x00003900
	;; [unrolled: 1-line block ×3, first 2 shown]
.long 0x86D85854
.long 0x925402FF, 0x00000080
.long 0xD1350008, 0x0000A900
.long 0x24101082
.long 0xD1000008, 0x0162113E
.long 0xBF8CC07F
.long 0xBF8A0000
.long 0xD86C0000, 0x0A000008
.long 0x24120082
.long 0xE0501000, 0x80120B09
.long 0xD1FE0006, 0x020A0103
.long 0xD1000006, 0x01620D3E
.long 0xD1FE0007, 0x02060103
.long 0xD1000007, 0x01620F3E
.long 0xD1196A04, 0x00010300
.long 0xD0C90054, 0x00003904
.long 0xD0C90058, 0x00003B01
.long 0x86D85854
.long 0x925402FF, 0x00000080
.long 0xD135000F, 0x0000A904
.long 0x241E1E82
.long 0xD100000F, 0x01621F3E
.long 0xD86C0000, 0x1100000F
.long 0x24200882
.long 0xE0501000, 0x80121210
.long 0xD1FE000D, 0x020A0903
.long 0xD100000D, 0x01621B3E
.long 0xD1FE000E, 0x02060903
.long 0xD100000E, 0x01621D3E
.long 0xD1196A04, 0x00010500
.long 0xD0C90054, 0x00003904
.long 0xD0C90058, 0x00003B01
.long 0x86D85854
.long 0x925402FF, 0x00000080
.long 0xD1350016, 0x0000A904
.long 0x242C2C82
.long 0xD1000016, 0x01622D3E
	;; [unrolled: 15-line block ×7, first 2 shown]
.long 0xD86C0000, 0x3B000039
.long 0x24740882
.long 0xE0501000, 0x80123C3A
.long 0xD1FE0037, 0x020A0903
	;; [unrolled: 1-line block ×13, first 2 shown]
.long 0xBF800001
.long 0xE070D000, 0x80030C06
.long 0xE070D000, 0x8003130D
	;; [unrolled: 1-line block ×8, first 2 shown]
.long 0xBF800000
.long 0x92421415
	;; [unrolled: 1-line block ×16, first 2 shown]
.long 0xC2330CCC, 0x00000000
.long 0x965F811C
.long 0x925E811C
	;; [unrolled: 1-line block ×15, first 2 shown]
.long 0x7E7C02FF, 0x80000000
.long 0xBEE00016
.long 0xBEE10017
	;; [unrolled: 1-line block ×7, first 2 shown]
.long 0xE050D000, 0x80180C06
.long 0xBE850032
.long 0x81858105
	;; [unrolled: 1-line block ×6, first 2 shown]
.long 0xE050D000, 0x80186806
.long 0x81858105
.long 0x80605A60
.long 0x82615B61
.long 0xBF008005
.long 0xBF8501FF
.long 0xE050D000, 0x80187006
.long 0x81858105
.long 0x80605A60
.long 0x82615B61
.long 0xBF008005
.long 0xBF8501F3
.long 0xE050D000, 0x80187806
.long 0x81858105
.long 0x80605A60
.long 0x82615B61
.long 0xBF008005
.long 0xBF8501E5
.long 0xE050D000, 0x80188006
.long 0x81858105
.long 0x80605A60
.long 0x82615B61
.long 0xBF008005
.long 0xBF8501D5
.long 0xE050D000, 0x80188806
.long 0x81858105
.long 0x80605A60
.long 0x82615B61
.long 0xBF008005
.long 0xBF8501C3
.long 0xE050D000, 0x80189006
.long 0x81858105
.long 0x80605A60
.long 0x82615B61
.long 0xBF008005
.long 0xBF8501AF
.long 0xE050D000, 0x80189806
.long 0x81858105
.long 0x80605A60
.long 0x82615B61
.long 0xBF008005
.long 0xBF850199
.long 0xE050D000, 0x8018A006
.long 0x81858105
.long 0x80605A60
.long 0x82615B61
.long 0xBF008005
.long 0xBF850181
.long 0xE050D000, 0x8018A806
.long 0x81858105
.long 0x80605A60
.long 0x82615B61
.long 0xBF008005
.long 0xBF850167
.long 0xE050D000, 0x8018B006
.long 0x81858105
.long 0x80605A60
.long 0x82615B61
.long 0xBF008005
.long 0xBF85014B
.long 0xE050D000, 0x8018B806
.long 0x81858105
.long 0x80605A60
.long 0x82615B61
.long 0xBF008005
.long 0xBF85012D
.long 0xE050D000, 0x8018C006
.long 0x81858105
.long 0x80605A60
.long 0x82615B61
.long 0xBF008005
.long 0xBF85010D
.long 0xE050D000, 0x8018C806
.long 0x81858105
.long 0x80605A60
.long 0x82615B61
.long 0xBF008005
.long 0xBF8500EB
.long 0xE050D000, 0x8018D006
.long 0x81858105
.long 0x80605A60
.long 0x82615B61
.long 0xBF008005
.long 0xBF8500C7
.long 0xE050D000, 0x8018D806
.long 0xBF8C0F7E
.long 0x0218D10C
.long 0x81858105
.long 0xBF05CE05
.long 0xBF8501A0
.long 0x80605A60
.long 0x82615B61
.long 0xD0C6005C, 0x00000A80
.long 0xD100003F, 0x01727D06
.long 0xE050D000, 0x8018683F
.long 0xBF8C0F7E
.long 0x0218E10C
.long 0x81858105
.long 0xBF05CE05
.long 0xBF850193
.long 0x80605A60
.long 0x82615B61
.long 0xD0C6005C, 0x00000A80
.long 0xD100003F, 0x01727D06
.long 0xE050D000, 0x8018703F
.long 0xBF8C0F7E
.long 0x0218F10C
.long 0x81858105
.long 0xBF05CE05
.long 0xBF850186
	;; [unrolled: 10-line block ×15, first 2 shown]
.long 0x0218E10C
.long 0xBF8C0F7B
	;; [unrolled: 1-line block ×221, first 2 shown]
.long 0x7E7C02FF, 0x80000000
.long 0xBEE00016
.long 0xBEE10017
	;; [unrolled: 1-line block ×4, first 2 shown]
.long 0xE050D000, 0x8018130D
.long 0xBE850032
.long 0x81858105
.long 0x80605A60
.long 0x82615B61
.long 0xBF008005
.long 0xBF850209
.long 0xE050D000, 0x8018680D
.long 0x81858105
.long 0x80605A60
.long 0x82615B61
.long 0xBF008005
.long 0xBF8501FF
.long 0xE050D000, 0x8018700D
.long 0x81858105
.long 0x80605A60
.long 0x82615B61
.long 0xBF008005
.long 0xBF8501F3
.long 0xE050D000, 0x8018780D
.long 0x81858105
.long 0x80605A60
.long 0x82615B61
.long 0xBF008005
.long 0xBF8501E5
.long 0xE050D000, 0x8018800D
.long 0x81858105
.long 0x80605A60
.long 0x82615B61
.long 0xBF008005
.long 0xBF8501D5
.long 0xE050D000, 0x8018880D
.long 0x81858105
.long 0x80605A60
.long 0x82615B61
.long 0xBF008005
.long 0xBF8501C3
.long 0xE050D000, 0x8018900D
.long 0x81858105
.long 0x80605A60
.long 0x82615B61
.long 0xBF008005
.long 0xBF8501AF
.long 0xE050D000, 0x8018980D
.long 0x81858105
.long 0x80605A60
.long 0x82615B61
.long 0xBF008005
.long 0xBF850199
.long 0xE050D000, 0x8018A00D
.long 0x81858105
.long 0x80605A60
.long 0x82615B61
.long 0xBF008005
.long 0xBF850181
.long 0xE050D000, 0x8018A80D
.long 0x81858105
.long 0x80605A60
.long 0x82615B61
.long 0xBF008005
.long 0xBF850167
.long 0xE050D000, 0x8018B00D
.long 0x81858105
.long 0x80605A60
.long 0x82615B61
.long 0xBF008005
.long 0xBF85014B
.long 0xE050D000, 0x8018B80D
.long 0x81858105
.long 0x80605A60
.long 0x82615B61
.long 0xBF008005
.long 0xBF85012D
.long 0xE050D000, 0x8018C00D
.long 0x81858105
.long 0x80605A60
.long 0x82615B61
.long 0xBF008005
.long 0xBF85010D
.long 0xE050D000, 0x8018C80D
.long 0x81858105
.long 0x80605A60
.long 0x82615B61
.long 0xBF008005
.long 0xBF8500EB
.long 0xE050D000, 0x8018D00D
.long 0x81858105
.long 0x80605A60
.long 0x82615B61
.long 0xBF008005
.long 0xBF8500C7
.long 0xE050D000, 0x8018D80D
.long 0xBF8C0F7E
.long 0x0226D113
.long 0x81858105
.long 0xBF05CE05
.long 0xBF8501A0
.long 0x80605A60
.long 0x82615B61
.long 0xD0C6005C, 0x00000A80
.long 0xD100003F, 0x01727D0D
.long 0xE050D000, 0x8018683F
.long 0xBF8C0F7E
.long 0x0226E113
.long 0x81858105
.long 0xBF05CE05
.long 0xBF850193
.long 0x80605A60
.long 0x82615B61
.long 0xD0C6005C, 0x00000A80
.long 0xD100003F, 0x01727D0D
.long 0xE050D000, 0x8018703F
.long 0xBF8C0F7E
.long 0x0226F113
.long 0x81858105
.long 0xBF05CE05
.long 0xBF850186
	;; [unrolled: 10-line block ×15, first 2 shown]
.long 0x0226E113
.long 0xBF8C0F7B
	;; [unrolled: 1-line block ×221, first 2 shown]
.long 0x7E7C02FF, 0x80000000
.long 0xBEE00016
.long 0xBEE10017
	;; [unrolled: 1-line block ×4, first 2 shown]
.long 0xE050D000, 0x80181A14
.long 0xBE850032
.long 0x81858105
	;; [unrolled: 1-line block ×6, first 2 shown]
.long 0xE050D000, 0x80186814
.long 0x81858105
.long 0x80605A60
.long 0x82615B61
.long 0xBF008005
.long 0xBF8501FF
.long 0xE050D000, 0x80187014
.long 0x81858105
.long 0x80605A60
.long 0x82615B61
.long 0xBF008005
.long 0xBF8501F3
	;; [unrolled: 6-line block ×15, first 2 shown]
.long 0x80605A60
.long 0x82615B61
.long 0xD0C6005C, 0x00000A80
.long 0xD100003F, 0x01727D14
.long 0xE050D000, 0x8018683F
.long 0xBF8C0F7E
.long 0x0234E11A
.long 0x81858105
.long 0xBF05CE05
.long 0xBF850193
.long 0x80605A60
.long 0x82615B61
.long 0xD0C6005C, 0x00000A80
.long 0xD100003F, 0x01727D14
.long 0xE050D000, 0x8018703F
.long 0xBF8C0F7E
.long 0x0234F11A
.long 0x81858105
.long 0xBF05CE05
.long 0xBF850186
	;; [unrolled: 10-line block ×15, first 2 shown]
.long 0x0234E11A
.long 0xBF8C0F7B
.long 0x0234F11A
.long 0xBF8C0F7A
.long 0x0235011A
.long 0xBF8C0F79
.long 0x0235111A
.long 0xBF8C0F78
.long 0x0235211A
.long 0xBF8C0F77
.long 0x0235311A
.long 0xBF8C0F76
.long 0x0235411A
.long 0xBF8C0F75
.long 0x0235511A
.long 0xBF8C0F74
.long 0x0235611A
.long 0xBF8C0F73
.long 0x0235711A
.long 0xBF8C0F72
.long 0x0235811A
.long 0xBF8C0F71
.long 0x0235911A
.long 0xBF8C0F70
.long 0x0235A11A
.long 0xBF8200C3
.long 0xBF8C0F7C
.long 0x0234D11A
.long 0xBF8C0F7B
.long 0x0234E11A
.long 0xBF8C0F7A
.long 0x0234F11A
.long 0xBF8C0F79
.long 0x0235011A
.long 0xBF8C0F78
.long 0x0235111A
.long 0xBF8C0F77
.long 0x0235211A
.long 0xBF8C0F76
.long 0x0235311A
.long 0xBF8C0F75
.long 0x0235411A
.long 0xBF8C0F74
.long 0x0235511A
.long 0xBF8C0F73
.long 0x0235611A
.long 0xBF8C0F72
.long 0x0235711A
.long 0xBF8C0F71
.long 0x0235811A
.long 0xBF8C0F70
.long 0x0235911A
.long 0xBF8200A8
.long 0xBF8C0F7B
.long 0x0234D11A
.long 0xBF8C0F7A
.long 0x0234E11A
.long 0xBF8C0F79
.long 0x0234F11A
.long 0xBF8C0F78
.long 0x0235011A
.long 0xBF8C0F77
.long 0x0235111A
.long 0xBF8C0F76
.long 0x0235211A
.long 0xBF8C0F75
.long 0x0235311A
.long 0xBF8C0F74
.long 0x0235411A
.long 0xBF8C0F73
.long 0x0235511A
.long 0xBF8C0F72
.long 0x0235611A
.long 0xBF8C0F71
.long 0x0235711A
.long 0xBF8C0F70
.long 0x0235811A
.long 0xBF82008F
.long 0xBF8C0F7A
.long 0x0234D11A
.long 0xBF8C0F79
.long 0x0234E11A
.long 0xBF8C0F78
.long 0x0234F11A
.long 0xBF8C0F77
.long 0x0235011A
.long 0xBF8C0F76
.long 0x0235111A
.long 0xBF8C0F75
.long 0x0235211A
.long 0xBF8C0F74
.long 0x0235311A
.long 0xBF8C0F73
.long 0x0235411A
.long 0xBF8C0F72
.long 0x0235511A
.long 0xBF8C0F71
.long 0x0235611A
.long 0xBF8C0F70
.long 0x0235711A
.long 0xBF820078
.long 0xBF8C0F79
.long 0x0234D11A
.long 0xBF8C0F78
.long 0x0234E11A
.long 0xBF8C0F77
.long 0x0234F11A
.long 0xBF8C0F76
.long 0x0235011A
.long 0xBF8C0F75
.long 0x0235111A
.long 0xBF8C0F74
.long 0x0235211A
.long 0xBF8C0F73
.long 0x0235311A
.long 0xBF8C0F72
.long 0x0235411A
.long 0xBF8C0F71
.long 0x0235511A
.long 0xBF8C0F70
.long 0x0235611A
.long 0xBF820063
.long 0xBF8C0F78
.long 0x0234D11A
.long 0xBF8C0F77
.long 0x0234E11A
.long 0xBF8C0F76
.long 0x0234F11A
.long 0xBF8C0F75
.long 0x0235011A
.long 0xBF8C0F74
.long 0x0235111A
.long 0xBF8C0F73
.long 0x0235211A
.long 0xBF8C0F72
.long 0x0235311A
.long 0xBF8C0F71
.long 0x0235411A
.long 0xBF8C0F70
.long 0x0235511A
.long 0xBF820050
.long 0xBF8C0F77
.long 0x0234D11A
.long 0xBF8C0F76
.long 0x0234E11A
.long 0xBF8C0F75
.long 0x0234F11A
.long 0xBF8C0F74
.long 0x0235011A
.long 0xBF8C0F73
.long 0x0235111A
.long 0xBF8C0F72
.long 0x0235211A
.long 0xBF8C0F71
.long 0x0235311A
.long 0xBF8C0F70
.long 0x0235411A
.long 0xBF82003F
.long 0xBF8C0F76
.long 0x0234D11A
.long 0xBF8C0F75
.long 0x0234E11A
.long 0xBF8C0F74
.long 0x0234F11A
.long 0xBF8C0F73
.long 0x0235011A
.long 0xBF8C0F72
.long 0x0235111A
.long 0xBF8C0F71
.long 0x0235211A
.long 0xBF8C0F70
.long 0x0235311A
.long 0xBF820030
.long 0xBF8C0F75
.long 0x0234D11A
.long 0xBF8C0F74
.long 0x0234E11A
.long 0xBF8C0F73
.long 0x0234F11A
.long 0xBF8C0F72
.long 0x0235011A
.long 0xBF8C0F71
.long 0x0235111A
.long 0xBF8C0F70
.long 0x0235211A
.long 0xBF820023
.long 0xBF8C0F74
.long 0x0234D11A
.long 0xBF8C0F73
.long 0x0234E11A
.long 0xBF8C0F72
.long 0x0234F11A
.long 0xBF8C0F71
.long 0x0235011A
.long 0xBF8C0F70
.long 0x0235111A
.long 0xBF820018
.long 0xBF8C0F73
.long 0x0234D11A
.long 0xBF8C0F72
.long 0x0234E11A
.long 0xBF8C0F71
.long 0x0234F11A
.long 0xBF8C0F70
.long 0x0235011A
.long 0xBF82000F
.long 0xBF8C0F72
.long 0x0234D11A
.long 0xBF8C0F71
.long 0x0234E11A
.long 0xBF8C0F70
.long 0x0234F11A
.long 0xBF820008
.long 0xBF8C0F71
.long 0x0234D11A
.long 0xBF8C0F70
.long 0x0234E11A
.long 0xBF820003
.long 0xBF8C0F70
.long 0x0234D11A
.long 0xBF820000
.long 0x7E7C02FF, 0x80000000
.long 0xBEE00016
.long 0xBEE10017
	;; [unrolled: 1-line block ×4, first 2 shown]
.long 0xE050D000, 0x8018211B
.long 0xBE850032
.long 0x81858105
	;; [unrolled: 1-line block ×6, first 2 shown]
.long 0xE050D000, 0x8018681B
.long 0x81858105
.long 0x80605A60
.long 0x82615B61
.long 0xBF008005
.long 0xBF8501FF
.long 0xE050D000, 0x8018701B
.long 0x81858105
.long 0x80605A60
.long 0x82615B61
.long 0xBF008005
.long 0xBF8501F3
	;; [unrolled: 6-line block ×15, first 2 shown]
.long 0x80605A60
.long 0x82615B61
.long 0xD0C6005C, 0x00000A80
.long 0xD100003F, 0x01727D1B
.long 0xE050D000, 0x8018683F
.long 0xBF8C0F7E
.long 0x0242E121
.long 0x81858105
.long 0xBF05CE05
.long 0xBF850193
.long 0x80605A60
.long 0x82615B61
.long 0xD0C6005C, 0x00000A80
.long 0xD100003F, 0x01727D1B
.long 0xE050D000, 0x8018703F
.long 0xBF8C0F7E
.long 0x0242F121
.long 0x81858105
.long 0xBF05CE05
.long 0xBF850186
	;; [unrolled: 10-line block ×15, first 2 shown]
.long 0x0242E121
.long 0xBF8C0F7B
	;; [unrolled: 1-line block ×221, first 2 shown]
.long 0x7E7C02FF, 0x80000000
.long 0xBEE00016
.long 0xBEE10017
.long 0xBEE2000E
.long 0xBEE3000F
.long 0xE050D000, 0x80182822
.long 0xBE850032
.long 0x81858105
	;; [unrolled: 1-line block ×6, first 2 shown]
.long 0xE050D000, 0x80186822
.long 0x81858105
.long 0x80605A60
.long 0x82615B61
.long 0xBF008005
.long 0xBF8501FF
.long 0xE050D000, 0x80187022
.long 0x81858105
.long 0x80605A60
.long 0x82615B61
.long 0xBF008005
.long 0xBF8501F3
	;; [unrolled: 6-line block ×15, first 2 shown]
.long 0x80605A60
.long 0x82615B61
.long 0xD0C6005C, 0x00000A80
.long 0xD100003F, 0x01727D22
.long 0xE050D000, 0x8018683F
.long 0xBF8C0F7E
.long 0x0250E128
.long 0x81858105
.long 0xBF05CE05
.long 0xBF850193
.long 0x80605A60
.long 0x82615B61
.long 0xD0C6005C, 0x00000A80
.long 0xD100003F, 0x01727D22
.long 0xE050D000, 0x8018703F
.long 0xBF8C0F7E
.long 0x0250F128
.long 0x81858105
.long 0xBF05CE05
.long 0xBF850186
	;; [unrolled: 10-line block ×15, first 2 shown]
.long 0x0250E128
.long 0xBF8C0F7B
	;; [unrolled: 1-line block ×221, first 2 shown]
.long 0x7E7C02FF, 0x80000000
.long 0xBEE00016
.long 0xBEE10017
	;; [unrolled: 1-line block ×4, first 2 shown]
.long 0xE050D000, 0x80182F29
.long 0xBE850032
.long 0x81858105
.long 0x80605A60
.long 0x82615B61
.long 0xBF008005
.long 0xBF850209
.long 0xE050D000, 0x80186829
.long 0x81858105
.long 0x80605A60
.long 0x82615B61
.long 0xBF008005
.long 0xBF8501FF
.long 0xE050D000, 0x80187029
.long 0x81858105
.long 0x80605A60
.long 0x82615B61
.long 0xBF008005
.long 0xBF8501F3
	;; [unrolled: 6-line block ×15, first 2 shown]
.long 0x80605A60
.long 0x82615B61
.long 0xD0C6005C, 0x00000A80
.long 0xD100003F, 0x01727D29
.long 0xE050D000, 0x8018683F
.long 0xBF8C0F7E
.long 0x025EE12F
.long 0x81858105
.long 0xBF05CE05
.long 0xBF850193
.long 0x80605A60
.long 0x82615B61
.long 0xD0C6005C, 0x00000A80
.long 0xD100003F, 0x01727D29
.long 0xE050D000, 0x8018703F
.long 0xBF8C0F7E
.long 0x025EF12F
.long 0x81858105
.long 0xBF05CE05
.long 0xBF850186
.long 0x80605A60
.long 0x82615B61
.long 0xD0C6005C, 0x00000A80
.long 0xD100003F, 0x01727D29
.long 0xE050D000, 0x8018783F
.long 0xBF8C0F7E
.long 0x025F012F
.long 0x81858105
.long 0xBF05CE05
.long 0xBF850179
.long 0x80605A60
.long 0x82615B61
.long 0xD0C6005C, 0x00000A80
.long 0xD100003F, 0x01727D29
.long 0xE050D000, 0x8018803F
.long 0xBF8C0F7E
.long 0x025F112F
.long 0x81858105
.long 0xBF05CE05
.long 0xBF85016C
.long 0x80605A60
.long 0x82615B61
.long 0xD0C6005C, 0x00000A80
.long 0xD100003F, 0x01727D29
.long 0xE050D000, 0x8018883F
.long 0xBF8C0F7E
.long 0x025F212F
.long 0x81858105
.long 0xBF05CE05
.long 0xBF85015F
.long 0x80605A60
.long 0x82615B61
.long 0xD0C6005C, 0x00000A80
.long 0xD100003F, 0x01727D29
.long 0xE050D000, 0x8018903F
.long 0xBF8C0F7E
.long 0x025F312F
.long 0x81858105
.long 0xBF05CE05
.long 0xBF850152
.long 0x80605A60
.long 0x82615B61
.long 0xD0C6005C, 0x00000A80
.long 0xD100003F, 0x01727D29
.long 0xE050D000, 0x8018983F
.long 0xBF8C0F7E
.long 0x025F412F
.long 0x81858105
.long 0xBF05CE05
.long 0xBF850145
.long 0x80605A60
.long 0x82615B61
.long 0xD0C6005C, 0x00000A80
.long 0xD100003F, 0x01727D29
.long 0xE050D000, 0x8018A03F
.long 0xBF8C0F7E
.long 0x025F512F
.long 0x81858105
.long 0xBF05CE05
.long 0xBF850138
.long 0x80605A60
.long 0x82615B61
.long 0xD0C6005C, 0x00000A80
.long 0xD100003F, 0x01727D29
.long 0xE050D000, 0x8018A83F
.long 0xBF8C0F7E
.long 0x025F612F
.long 0x81858105
.long 0xBF05CE05
.long 0xBF85012B
.long 0x80605A60
.long 0x82615B61
.long 0xD0C6005C, 0x00000A80
.long 0xD100003F, 0x01727D29
.long 0xE050D000, 0x8018B03F
.long 0xBF8C0F7E
.long 0x025F712F
.long 0x81858105
.long 0xBF05CE05
.long 0xBF85011E
.long 0x80605A60
.long 0x82615B61
.long 0xD0C6005C, 0x00000A80
.long 0xD100003F, 0x01727D29
.long 0xE050D000, 0x8018B83F
.long 0xBF8C0F7E
.long 0x025F812F
.long 0x81858105
.long 0xBF05CE05
.long 0xBF850111
.long 0x80605A60
.long 0x82615B61
.long 0xD0C6005C, 0x00000A80
.long 0xD100003F, 0x01727D29
.long 0xE050D000, 0x8018C03F
.long 0xBF8C0F7E
.long 0x025F912F
.long 0x81858105
.long 0xBF05CE05
.long 0xBF850104
.long 0x80605A60
.long 0x82615B61
.long 0xD0C6005C, 0x00000A80
.long 0xD100003F, 0x01727D29
.long 0xE050D000, 0x8018C83F
.long 0xBF8C0F7E
.long 0x025FA12F
.long 0x81858105
.long 0xBF05CE05
.long 0xBF8500F7
.long 0x80605A60
.long 0x82615B61
.long 0xD0C6005C, 0x00000A80
.long 0xD100003F, 0x01727D29
.long 0xE050D000, 0x8018D03F
.long 0xBF8C0F7E
.long 0x025FB12F
.long 0x81858105
.long 0xBF05CE05
.long 0xBF8500EA
.long 0x80605A60
.long 0x82615B61
.long 0xD0C6005C, 0x00000A80
.long 0xD100003F, 0x01727D29
.long 0xE050D000, 0x8018D83F
.long 0xBF02CE05
.long 0xBF85FF3B
.long 0xBF8C0F7D
.long 0x025ED12F
.long 0xBF8C0F7C
.long 0x025EE12F
.long 0xBF8C0F7B
.long 0x025EF12F
.long 0xBF8C0F7A
.long 0x025F012F
.long 0xBF8C0F79
.long 0x025F112F
.long 0xBF8C0F78
.long 0x025F212F
.long 0xBF8C0F77
.long 0x025F312F
.long 0xBF8C0F76
.long 0x025F412F
.long 0xBF8C0F75
.long 0x025F512F
.long 0xBF8C0F74
.long 0x025F612F
.long 0xBF8C0F73
.long 0x025F712F
.long 0xBF8C0F72
.long 0x025F812F
.long 0xBF8C0F71
.long 0x025F912F
.long 0xBF8C0F70
.long 0x025FA12F
.long 0xBF8200C3
.long 0xBF8C0F7C
.long 0x025ED12F
.long 0xBF8C0F7B
.long 0x025EE12F
.long 0xBF8C0F7A
.long 0x025EF12F
.long 0xBF8C0F79
.long 0x025F012F
.long 0xBF8C0F78
.long 0x025F112F
.long 0xBF8C0F77
.long 0x025F212F
.long 0xBF8C0F76
.long 0x025F312F
.long 0xBF8C0F75
.long 0x025F412F
.long 0xBF8C0F74
.long 0x025F512F
.long 0xBF8C0F73
.long 0x025F612F
.long 0xBF8C0F72
.long 0x025F712F
.long 0xBF8C0F71
.long 0x025F812F
.long 0xBF8C0F70
.long 0x025F912F
.long 0xBF8200A8
.long 0xBF8C0F7B
.long 0x025ED12F
.long 0xBF8C0F7A
.long 0x025EE12F
.long 0xBF8C0F79
.long 0x025EF12F
.long 0xBF8C0F78
.long 0x025F012F
.long 0xBF8C0F77
.long 0x025F112F
.long 0xBF8C0F76
.long 0x025F212F
.long 0xBF8C0F75
.long 0x025F312F
.long 0xBF8C0F74
.long 0x025F412F
.long 0xBF8C0F73
.long 0x025F512F
.long 0xBF8C0F72
.long 0x025F612F
.long 0xBF8C0F71
.long 0x025F712F
.long 0xBF8C0F70
.long 0x025F812F
.long 0xBF82008F
.long 0xBF8C0F7A
.long 0x025ED12F
.long 0xBF8C0F79
.long 0x025EE12F
.long 0xBF8C0F78
.long 0x025EF12F
.long 0xBF8C0F77
.long 0x025F012F
.long 0xBF8C0F76
.long 0x025F112F
.long 0xBF8C0F75
.long 0x025F212F
.long 0xBF8C0F74
.long 0x025F312F
.long 0xBF8C0F73
.long 0x025F412F
.long 0xBF8C0F72
.long 0x025F512F
.long 0xBF8C0F71
.long 0x025F612F
.long 0xBF8C0F70
.long 0x025F712F
.long 0xBF820078
.long 0xBF8C0F79
.long 0x025ED12F
.long 0xBF8C0F78
.long 0x025EE12F
.long 0xBF8C0F77
.long 0x025EF12F
.long 0xBF8C0F76
.long 0x025F012F
.long 0xBF8C0F75
.long 0x025F112F
.long 0xBF8C0F74
.long 0x025F212F
.long 0xBF8C0F73
.long 0x025F312F
.long 0xBF8C0F72
.long 0x025F412F
.long 0xBF8C0F71
.long 0x025F512F
.long 0xBF8C0F70
.long 0x025F612F
.long 0xBF820063
.long 0xBF8C0F78
.long 0x025ED12F
.long 0xBF8C0F77
.long 0x025EE12F
.long 0xBF8C0F76
.long 0x025EF12F
.long 0xBF8C0F75
.long 0x025F012F
.long 0xBF8C0F74
.long 0x025F112F
.long 0xBF8C0F73
.long 0x025F212F
.long 0xBF8C0F72
.long 0x025F312F
.long 0xBF8C0F71
.long 0x025F412F
.long 0xBF8C0F70
.long 0x025F512F
.long 0xBF820050
.long 0xBF8C0F77
.long 0x025ED12F
.long 0xBF8C0F76
.long 0x025EE12F
.long 0xBF8C0F75
.long 0x025EF12F
.long 0xBF8C0F74
.long 0x025F012F
.long 0xBF8C0F73
.long 0x025F112F
.long 0xBF8C0F72
.long 0x025F212F
.long 0xBF8C0F71
.long 0x025F312F
.long 0xBF8C0F70
.long 0x025F412F
.long 0xBF82003F
.long 0xBF8C0F76
.long 0x025ED12F
.long 0xBF8C0F75
.long 0x025EE12F
.long 0xBF8C0F74
.long 0x025EF12F
.long 0xBF8C0F73
.long 0x025F012F
.long 0xBF8C0F72
.long 0x025F112F
.long 0xBF8C0F71
.long 0x025F212F
.long 0xBF8C0F70
.long 0x025F312F
.long 0xBF820030
.long 0xBF8C0F75
.long 0x025ED12F
.long 0xBF8C0F74
.long 0x025EE12F
.long 0xBF8C0F73
.long 0x025EF12F
.long 0xBF8C0F72
.long 0x025F012F
.long 0xBF8C0F71
.long 0x025F112F
.long 0xBF8C0F70
.long 0x025F212F
.long 0xBF820023
.long 0xBF8C0F74
.long 0x025ED12F
.long 0xBF8C0F73
.long 0x025EE12F
.long 0xBF8C0F72
.long 0x025EF12F
.long 0xBF8C0F71
.long 0x025F012F
.long 0xBF8C0F70
.long 0x025F112F
.long 0xBF820018
.long 0xBF8C0F73
.long 0x025ED12F
.long 0xBF8C0F72
.long 0x025EE12F
.long 0xBF8C0F71
.long 0x025EF12F
.long 0xBF8C0F70
.long 0x025F012F
.long 0xBF82000F
.long 0xBF8C0F72
.long 0x025ED12F
.long 0xBF8C0F71
.long 0x025EE12F
.long 0xBF8C0F70
.long 0x025EF12F
.long 0xBF820008
.long 0xBF8C0F71
.long 0x025ED12F
.long 0xBF8C0F70
.long 0x025EE12F
.long 0xBF820003
.long 0xBF8C0F70
.long 0x025ED12F
.long 0xBF820000
.long 0x7E7C02FF, 0x80000000
.long 0xBEE00016
.long 0xBEE10017
	;; [unrolled: 1-line block ×4, first 2 shown]
.long 0xE050D000, 0x80183630
.long 0xBE850032
.long 0x81858105
	;; [unrolled: 1-line block ×6, first 2 shown]
.long 0xE050D000, 0x80186830
.long 0x81858105
.long 0x80605A60
.long 0x82615B61
.long 0xBF008005
.long 0xBF8501FF
.long 0xE050D000, 0x80187030
.long 0x81858105
.long 0x80605A60
.long 0x82615B61
.long 0xBF008005
.long 0xBF8501F3
.long 0xE050D000, 0x80187830
.long 0x81858105
.long 0x80605A60
.long 0x82615B61
.long 0xBF008005
.long 0xBF8501E5
.long 0xE050D000, 0x80188030
.long 0x81858105
.long 0x80605A60
.long 0x82615B61
.long 0xBF008005
.long 0xBF8501D5
.long 0xE050D000, 0x80188830
.long 0x81858105
.long 0x80605A60
.long 0x82615B61
.long 0xBF008005
.long 0xBF8501C3
.long 0xE050D000, 0x80189030
.long 0x81858105
.long 0x80605A60
.long 0x82615B61
.long 0xBF008005
.long 0xBF8501AF
.long 0xE050D000, 0x80189830
.long 0x81858105
.long 0x80605A60
.long 0x82615B61
.long 0xBF008005
.long 0xBF850199
.long 0xE050D000, 0x8018A030
.long 0x81858105
.long 0x80605A60
.long 0x82615B61
.long 0xBF008005
.long 0xBF850181
.long 0xE050D000, 0x8018A830
.long 0x81858105
.long 0x80605A60
.long 0x82615B61
.long 0xBF008005
.long 0xBF850167
.long 0xE050D000, 0x8018B030
.long 0x81858105
.long 0x80605A60
.long 0x82615B61
.long 0xBF008005
.long 0xBF85014B
.long 0xE050D000, 0x8018B830
.long 0x81858105
.long 0x80605A60
.long 0x82615B61
.long 0xBF008005
.long 0xBF85012D
.long 0xE050D000, 0x8018C030
.long 0x81858105
.long 0x80605A60
.long 0x82615B61
.long 0xBF008005
.long 0xBF85010D
.long 0xE050D000, 0x8018C830
.long 0x81858105
.long 0x80605A60
.long 0x82615B61
.long 0xBF008005
.long 0xBF8500EB
.long 0xE050D000, 0x8018D030
.long 0x81858105
.long 0x80605A60
.long 0x82615B61
.long 0xBF008005
.long 0xBF8500C7
.long 0xE050D000, 0x8018D830
.long 0xBF8C0F7E
.long 0x026CD136
.long 0x81858105
.long 0xBF05CE05
.long 0xBF8501A0
.long 0x80605A60
.long 0x82615B61
.long 0xD0C6005C, 0x00000A80
.long 0xD100003F, 0x01727D30
.long 0xE050D000, 0x8018683F
.long 0xBF8C0F7E
.long 0x026CE136
.long 0x81858105
.long 0xBF05CE05
.long 0xBF850193
.long 0x80605A60
.long 0x82615B61
.long 0xD0C6005C, 0x00000A80
.long 0xD100003F, 0x01727D30
.long 0xE050D000, 0x8018703F
.long 0xBF8C0F7E
.long 0x026CF136
.long 0x81858105
.long 0xBF05CE05
.long 0xBF850186
	;; [unrolled: 10-line block ×15, first 2 shown]
.long 0x026CE136
.long 0xBF8C0F7B
	;; [unrolled: 1-line block ×221, first 2 shown]
.long 0x7E7C02FF, 0x80000000
.long 0xBEE00016
.long 0xBEE10017
.long 0xBEE2000E
.long 0xBEE3000F
.long 0xE050D000, 0x80183D37
.long 0xBE850032
.long 0x81858105
	;; [unrolled: 1-line block ×6, first 2 shown]
.long 0xE050D000, 0x80186837
.long 0x81858105
.long 0x80605A60
.long 0x82615B61
.long 0xBF008005
.long 0xBF8501FF
.long 0xE050D000, 0x80187037
.long 0x81858105
.long 0x80605A60
.long 0x82615B61
.long 0xBF008005
.long 0xBF8501F3
	;; [unrolled: 6-line block ×15, first 2 shown]
.long 0x80605A60
.long 0x82615B61
.long 0xD0C6005C, 0x00000A80
.long 0xD100003F, 0x01727D37
.long 0xE050D000, 0x8018683F
.long 0xBF8C0F7E
.long 0x027AE13D
.long 0x81858105
.long 0xBF05CE05
.long 0xBF850193
.long 0x80605A60
.long 0x82615B61
.long 0xD0C6005C, 0x00000A80
.long 0xD100003F, 0x01727D37
.long 0xE050D000, 0x8018703F
.long 0xBF8C0F7E
.long 0x027AF13D
.long 0x81858105
.long 0xBF05CE05
.long 0xBF850186
	;; [unrolled: 10-line block ×15, first 2 shown]
.long 0x027AE13D
.long 0xBF8C0F7B
	;; [unrolled: 1-line block ×230, first 2 shown]
.long 0xD0CC0038, 0x0001004A
.long 0xD100000B, 0x00E216F2
.long 0x0A18190B
.long 0x0218190A
.long 0x261818FF, 0x7FFFFFFF
.long 0x7E18150C
.long 0xE068D000, 0x80140C07
.long 0xBF800000
.long 0xD0CC0038, 0x0001004A
.long 0xD1000012, 0x00E224F2
.long 0x0A262712
.long 0x02262711
.long 0x262626FF, 0x7FFFFFFF
.long 0x7E261513
.long 0xE068D000, 0x8014130E
.long 0xBF800000
	;; [unrolled: 8-line block ×8, first 2 shown]
.long 0xBF800000
.long 0xBED41C00
.long 0x815684FF, 0x00020560
.long 0x80545654
.long 0x82558055
	;; [unrolled: 1-line block ×3, first 2 shown]
.long 0x7E7C02FF, 0x80000000
.long 0xD0C90054, 0x00003900
	;; [unrolled: 1-line block ×3, first 2 shown]
.long 0x86D85854
.long 0x925402FF, 0x00000080
.long 0xD1350008, 0x0000A900
.long 0x24101082
.long 0xD1000008, 0x0162113E
.long 0xBF8CC07F
.long 0xBF8A0000
.long 0xD86C0000, 0x0A000008
.long 0x24120082
.long 0xE0501000, 0x80120B09
.long 0xD1FE0006, 0x020A0103
.long 0xD1000006, 0x01620D3E
.long 0xD1FE0007, 0x02060103
.long 0xD1000007, 0x01620F3E
.long 0xD1196A04, 0x00010300
.long 0xD0C90054, 0x00003904
.long 0xD0C90058, 0x00003B01
.long 0x86D85854
.long 0x925402FF, 0x00000080
.long 0xD135000F, 0x0000A904
.long 0x241E1E82
.long 0xD100000F, 0x01621F3E
.long 0xD86C0000, 0x1100000F
.long 0x24200882
.long 0xE0501000, 0x80121210
.long 0xD1FE000D, 0x020A0903
.long 0xD100000D, 0x01621B3E
.long 0xD1FE000E, 0x02060903
.long 0xD100000E, 0x01621D3E
.long 0xD1196A04, 0x00010500
.long 0xD0C90054, 0x00003904
.long 0xD0C90058, 0x00003B01
.long 0x86D85854
.long 0x925402FF, 0x00000080
.long 0xD1350016, 0x0000A904
.long 0x242C2C82
.long 0xD1000016, 0x01622D3E
.long 0xD86C0000, 0x18000016
.long 0x242E0882
.long 0xE0501000, 0x80121917
.long 0xD1FE0014, 0x020A0903
.long 0xD1000014, 0x0162293E
.long 0xD1FE0015, 0x02060903
.long 0xD1000015, 0x01622B3E
.long 0xD1196A04, 0x00010700
.long 0xD0C90054, 0x00003904
.long 0xD0C90058, 0x00003B01
.long 0x86D85854
.long 0x925402FF, 0x00000080
.long 0xD135001D, 0x0000A904
.long 0x243A3A82
.long 0xD100001D, 0x01623B3E
.long 0xD86C0000, 0x1F00001D
.long 0x243C0882
.long 0xE0501000, 0x8012201E
.long 0xD1FE001B, 0x020A0903
.long 0xD100001B, 0x0162373E
.long 0xD1FE001C, 0x02060903
.long 0xD100001C, 0x0162393E
.long 0xD1196A04, 0x00010900
.long 0xD0C90054, 0x00003904
.long 0xD0C90058, 0x00003B01
.long 0x86D85854
.long 0x925402FF, 0x00000080
.long 0xD1350024, 0x0000A904
.long 0x24484882
.long 0xD1000024, 0x0162493E
.long 0xD86C0000, 0x26000024
.long 0x244A0882
.long 0xE0501000, 0x80122725
.long 0xD1FE0022, 0x020A0903
.long 0xD1000022, 0x0162453E
.long 0xD1FE0023, 0x02060903
.long 0xD1000023, 0x0162473E
.long 0xD1196A04, 0x00010B00
.long 0xD0C90054, 0x00003904
.long 0xD0C90058, 0x00003B01
.long 0x86D85854
.long 0x925402FF, 0x00000080
.long 0xD135002B, 0x0000A904
.long 0x24565682
.long 0xD100002B, 0x0162573E
.long 0xD86C0000, 0x2D00002B
.long 0x24580882
.long 0xE0501000, 0x80122E2C
.long 0xD1FE0029, 0x020A0903
.long 0xD1000029, 0x0162533E
.long 0xD1FE002A, 0x02060903
.long 0xD100002A, 0x0162553E
.long 0xD1196A04, 0x00010D00
.long 0xD0C90054, 0x00003904
.long 0xD0C90058, 0x00003B01
.long 0x86D85854
.long 0x925402FF, 0x00000080
.long 0xD1350032, 0x0000A904
.long 0x24646482
.long 0xD1000032, 0x0162653E
.long 0xD86C0000, 0x34000032
.long 0x24660882
.long 0xE0501000, 0x80123533
.long 0xD1FE0030, 0x020A0903
.long 0xD1000030, 0x0162613E
.long 0xD1FE0031, 0x02060903
.long 0xD1000031, 0x0162633E
.long 0xD1196A04, 0x00010F00
.long 0xD0C90054, 0x00003904
.long 0xD0C90058, 0x00003B01
.long 0x86D85854
.long 0x925402FF, 0x00000080
.long 0xD1350039, 0x0000A904
.long 0x24727282
.long 0xD1000039, 0x0162733E
.long 0xD86C0000, 0x3B000039
.long 0x24740882
.long 0xE0501000, 0x80123C3A
.long 0xD1FE0037, 0x020A0903
	;; [unrolled: 1-line block ×13, first 2 shown]
.long 0xBF800001
.long 0xE070D000, 0x80030C06
.long 0xE070D000, 0x8003130D
	;; [unrolled: 1-line block ×8, first 2 shown]
.long 0xBF800000
.long 0x92421415
	;; [unrolled: 1-line block ×16, first 2 shown]
.long 0xC2330CCC, 0x00000000
.long 0x965F811C
.long 0x925E811C
	;; [unrolled: 1-line block ×15, first 2 shown]
.long 0x7E7C02FF, 0x80000000
.long 0xBEE00016
.long 0xBEE10017
	;; [unrolled: 1-line block ×7, first 2 shown]
.long 0xE050D000, 0x80180C06
.long 0xBE850032
.long 0x81858105
	;; [unrolled: 1-line block ×6, first 2 shown]
.long 0xE050D000, 0x80186806
.long 0x81858105
.long 0x80605A60
.long 0x82615B61
.long 0xBF008005
.long 0xBF8501FF
.long 0xE050D000, 0x80187006
.long 0x81858105
.long 0x80605A60
.long 0x82615B61
.long 0xBF008005
.long 0xBF8501F3
	;; [unrolled: 6-line block ×15, first 2 shown]
.long 0x80605A60
.long 0x82615B61
.long 0xD0C6005C, 0x00000A80
.long 0xD100003F, 0x01727D06
.long 0xE050D000, 0x8018683F
.long 0xBF8C0F7E
.long 0x0218E10C
.long 0x81858105
.long 0xBF05CE05
.long 0xBF850193
.long 0x80605A60
.long 0x82615B61
.long 0xD0C6005C, 0x00000A80
.long 0xD100003F, 0x01727D06
.long 0xE050D000, 0x8018703F
.long 0xBF8C0F7E
.long 0x0218F10C
.long 0x81858105
.long 0xBF05CE05
.long 0xBF850186
	;; [unrolled: 10-line block ×15, first 2 shown]
.long 0x0218E10C
.long 0xBF8C0F7B
	;; [unrolled: 1-line block ×221, first 2 shown]
.long 0x7E7C02FF, 0x80000000
.long 0xBEE00016
.long 0xBEE10017
.long 0xBEE2000E
.long 0xBEE3000F
.long 0xE050D000, 0x8018130D
.long 0xBE850032
.long 0x81858105
	;; [unrolled: 1-line block ×6, first 2 shown]
.long 0xE050D000, 0x8018680D
.long 0x81858105
.long 0x80605A60
.long 0x82615B61
.long 0xBF008005
.long 0xBF8501FF
.long 0xE050D000, 0x8018700D
.long 0x81858105
.long 0x80605A60
.long 0x82615B61
.long 0xBF008005
.long 0xBF8501F3
	;; [unrolled: 6-line block ×15, first 2 shown]
.long 0x80605A60
.long 0x82615B61
.long 0xD0C6005C, 0x00000A80
.long 0xD100003F, 0x01727D0D
.long 0xE050D000, 0x8018683F
.long 0xBF8C0F7E
.long 0x0226E113
.long 0x81858105
.long 0xBF05CE05
.long 0xBF850193
.long 0x80605A60
.long 0x82615B61
.long 0xD0C6005C, 0x00000A80
.long 0xD100003F, 0x01727D0D
.long 0xE050D000, 0x8018703F
.long 0xBF8C0F7E
.long 0x0226F113
.long 0x81858105
.long 0xBF05CE05
.long 0xBF850186
	;; [unrolled: 10-line block ×15, first 2 shown]
.long 0x0226E113
.long 0xBF8C0F7B
	;; [unrolled: 1-line block ×221, first 2 shown]
.long 0x7E7C02FF, 0x80000000
.long 0xBEE00016
.long 0xBEE10017
	;; [unrolled: 1-line block ×4, first 2 shown]
.long 0xE050D000, 0x80181A14
.long 0xBE850032
.long 0x81858105
.long 0x80605A60
.long 0x82615B61
.long 0xBF008005
.long 0xBF850209
.long 0xE050D000, 0x80186814
.long 0x81858105
.long 0x80605A60
.long 0x82615B61
.long 0xBF008005
.long 0xBF8501FF
.long 0xE050D000, 0x80187014
.long 0x81858105
.long 0x80605A60
.long 0x82615B61
.long 0xBF008005
.long 0xBF8501F3
	;; [unrolled: 6-line block ×15, first 2 shown]
.long 0x80605A60
.long 0x82615B61
.long 0xD0C6005C, 0x00000A80
.long 0xD100003F, 0x01727D14
.long 0xE050D000, 0x8018683F
.long 0xBF8C0F7E
.long 0x0234E11A
.long 0x81858105
.long 0xBF05CE05
.long 0xBF850193
.long 0x80605A60
.long 0x82615B61
.long 0xD0C6005C, 0x00000A80
.long 0xD100003F, 0x01727D14
.long 0xE050D000, 0x8018703F
.long 0xBF8C0F7E
.long 0x0234F11A
.long 0x81858105
.long 0xBF05CE05
.long 0xBF850186
.long 0x80605A60
.long 0x82615B61
.long 0xD0C6005C, 0x00000A80
.long 0xD100003F, 0x01727D14
.long 0xE050D000, 0x8018783F
.long 0xBF8C0F7E
.long 0x0235011A
.long 0x81858105
.long 0xBF05CE05
.long 0xBF850179
.long 0x80605A60
.long 0x82615B61
.long 0xD0C6005C, 0x00000A80
.long 0xD100003F, 0x01727D14
.long 0xE050D000, 0x8018803F
.long 0xBF8C0F7E
.long 0x0235111A
.long 0x81858105
.long 0xBF05CE05
.long 0xBF85016C
.long 0x80605A60
.long 0x82615B61
.long 0xD0C6005C, 0x00000A80
.long 0xD100003F, 0x01727D14
.long 0xE050D000, 0x8018883F
.long 0xBF8C0F7E
.long 0x0235211A
.long 0x81858105
.long 0xBF05CE05
.long 0xBF85015F
.long 0x80605A60
.long 0x82615B61
.long 0xD0C6005C, 0x00000A80
.long 0xD100003F, 0x01727D14
.long 0xE050D000, 0x8018903F
.long 0xBF8C0F7E
.long 0x0235311A
.long 0x81858105
.long 0xBF05CE05
.long 0xBF850152
.long 0x80605A60
.long 0x82615B61
.long 0xD0C6005C, 0x00000A80
.long 0xD100003F, 0x01727D14
.long 0xE050D000, 0x8018983F
.long 0xBF8C0F7E
.long 0x0235411A
.long 0x81858105
.long 0xBF05CE05
.long 0xBF850145
.long 0x80605A60
.long 0x82615B61
.long 0xD0C6005C, 0x00000A80
.long 0xD100003F, 0x01727D14
.long 0xE050D000, 0x8018A03F
.long 0xBF8C0F7E
.long 0x0235511A
.long 0x81858105
.long 0xBF05CE05
.long 0xBF850138
.long 0x80605A60
.long 0x82615B61
.long 0xD0C6005C, 0x00000A80
.long 0xD100003F, 0x01727D14
.long 0xE050D000, 0x8018A83F
.long 0xBF8C0F7E
.long 0x0235611A
.long 0x81858105
.long 0xBF05CE05
.long 0xBF85012B
.long 0x80605A60
.long 0x82615B61
.long 0xD0C6005C, 0x00000A80
.long 0xD100003F, 0x01727D14
.long 0xE050D000, 0x8018B03F
.long 0xBF8C0F7E
.long 0x0235711A
.long 0x81858105
.long 0xBF05CE05
.long 0xBF85011E
.long 0x80605A60
.long 0x82615B61
.long 0xD0C6005C, 0x00000A80
.long 0xD100003F, 0x01727D14
.long 0xE050D000, 0x8018B83F
.long 0xBF8C0F7E
.long 0x0235811A
.long 0x81858105
.long 0xBF05CE05
.long 0xBF850111
.long 0x80605A60
.long 0x82615B61
.long 0xD0C6005C, 0x00000A80
.long 0xD100003F, 0x01727D14
.long 0xE050D000, 0x8018C03F
.long 0xBF8C0F7E
.long 0x0235911A
.long 0x81858105
.long 0xBF05CE05
.long 0xBF850104
.long 0x80605A60
.long 0x82615B61
.long 0xD0C6005C, 0x00000A80
.long 0xD100003F, 0x01727D14
.long 0xE050D000, 0x8018C83F
.long 0xBF8C0F7E
.long 0x0235A11A
.long 0x81858105
.long 0xBF05CE05
.long 0xBF8500F7
.long 0x80605A60
.long 0x82615B61
.long 0xD0C6005C, 0x00000A80
.long 0xD100003F, 0x01727D14
.long 0xE050D000, 0x8018D03F
.long 0xBF8C0F7E
.long 0x0235B11A
.long 0x81858105
.long 0xBF05CE05
.long 0xBF8500EA
.long 0x80605A60
.long 0x82615B61
.long 0xD0C6005C, 0x00000A80
.long 0xD100003F, 0x01727D14
.long 0xE050D000, 0x8018D83F
.long 0xBF02CE05
.long 0xBF85FF3B
.long 0xBF8C0F7D
.long 0x0234D11A
.long 0xBF8C0F7C
.long 0x0234E11A
.long 0xBF8C0F7B
	;; [unrolled: 1-line block ×221, first 2 shown]
.long 0x7E7C02FF, 0x80000000
.long 0xBEE00016
.long 0xBEE10017
	;; [unrolled: 1-line block ×4, first 2 shown]
.long 0xE050D000, 0x8018211B
.long 0xBE850032
.long 0x81858105
	;; [unrolled: 1-line block ×6, first 2 shown]
.long 0xE050D000, 0x8018681B
.long 0x81858105
.long 0x80605A60
.long 0x82615B61
.long 0xBF008005
.long 0xBF8501FF
.long 0xE050D000, 0x8018701B
.long 0x81858105
.long 0x80605A60
.long 0x82615B61
.long 0xBF008005
.long 0xBF8501F3
	;; [unrolled: 6-line block ×15, first 2 shown]
.long 0x80605A60
.long 0x82615B61
.long 0xD0C6005C, 0x00000A80
.long 0xD100003F, 0x01727D1B
.long 0xE050D000, 0x8018683F
.long 0xBF8C0F7E
.long 0x0242E121
.long 0x81858105
.long 0xBF05CE05
.long 0xBF850193
.long 0x80605A60
.long 0x82615B61
.long 0xD0C6005C, 0x00000A80
.long 0xD100003F, 0x01727D1B
.long 0xE050D000, 0x8018703F
.long 0xBF8C0F7E
.long 0x0242F121
.long 0x81858105
.long 0xBF05CE05
.long 0xBF850186
	;; [unrolled: 10-line block ×15, first 2 shown]
.long 0x0242E121
.long 0xBF8C0F7B
	;; [unrolled: 1-line block ×221, first 2 shown]
.long 0x7E7C02FF, 0x80000000
.long 0xBEE00016
.long 0xBEE10017
	;; [unrolled: 1-line block ×4, first 2 shown]
.long 0xE050D000, 0x80182822
.long 0xBE850032
.long 0x81858105
	;; [unrolled: 1-line block ×6, first 2 shown]
.long 0xE050D000, 0x80186822
.long 0x81858105
.long 0x80605A60
.long 0x82615B61
.long 0xBF008005
.long 0xBF8501FF
.long 0xE050D000, 0x80187022
.long 0x81858105
.long 0x80605A60
.long 0x82615B61
.long 0xBF008005
.long 0xBF8501F3
	;; [unrolled: 6-line block ×15, first 2 shown]
.long 0x80605A60
.long 0x82615B61
.long 0xD0C6005C, 0x00000A80
.long 0xD100003F, 0x01727D22
.long 0xE050D000, 0x8018683F
.long 0xBF8C0F7E
.long 0x0250E128
.long 0x81858105
.long 0xBF05CE05
.long 0xBF850193
.long 0x80605A60
.long 0x82615B61
.long 0xD0C6005C, 0x00000A80
.long 0xD100003F, 0x01727D22
.long 0xE050D000, 0x8018703F
.long 0xBF8C0F7E
.long 0x0250F128
.long 0x81858105
.long 0xBF05CE05
.long 0xBF850186
	;; [unrolled: 10-line block ×15, first 2 shown]
.long 0x0250E128
.long 0xBF8C0F7B
	;; [unrolled: 1-line block ×221, first 2 shown]
.long 0x7E7C02FF, 0x80000000
.long 0xBEE00016
.long 0xBEE10017
	;; [unrolled: 1-line block ×4, first 2 shown]
.long 0xE050D000, 0x80182F29
.long 0xBE850032
.long 0x81858105
	;; [unrolled: 1-line block ×6, first 2 shown]
.long 0xE050D000, 0x80186829
.long 0x81858105
.long 0x80605A60
.long 0x82615B61
.long 0xBF008005
.long 0xBF8501FF
.long 0xE050D000, 0x80187029
.long 0x81858105
.long 0x80605A60
.long 0x82615B61
.long 0xBF008005
.long 0xBF8501F3
	;; [unrolled: 6-line block ×15, first 2 shown]
.long 0x80605A60
.long 0x82615B61
.long 0xD0C6005C, 0x00000A80
.long 0xD100003F, 0x01727D29
.long 0xE050D000, 0x8018683F
.long 0xBF8C0F7E
.long 0x025EE12F
.long 0x81858105
.long 0xBF05CE05
.long 0xBF850193
.long 0x80605A60
.long 0x82615B61
.long 0xD0C6005C, 0x00000A80
.long 0xD100003F, 0x01727D29
.long 0xE050D000, 0x8018703F
.long 0xBF8C0F7E
.long 0x025EF12F
.long 0x81858105
.long 0xBF05CE05
.long 0xBF850186
	;; [unrolled: 10-line block ×15, first 2 shown]
.long 0x025EE12F
.long 0xBF8C0F7B
	;; [unrolled: 1-line block ×221, first 2 shown]
.long 0x7E7C02FF, 0x80000000
.long 0xBEE00016
.long 0xBEE10017
	;; [unrolled: 1-line block ×4, first 2 shown]
.long 0xE050D000, 0x80183630
.long 0xBE850032
.long 0x81858105
	;; [unrolled: 1-line block ×6, first 2 shown]
.long 0xE050D000, 0x80186830
.long 0x81858105
.long 0x80605A60
.long 0x82615B61
.long 0xBF008005
.long 0xBF8501FF
.long 0xE050D000, 0x80187030
.long 0x81858105
.long 0x80605A60
.long 0x82615B61
.long 0xBF008005
.long 0xBF8501F3
	;; [unrolled: 6-line block ×15, first 2 shown]
.long 0x80605A60
.long 0x82615B61
.long 0xD0C6005C, 0x00000A80
.long 0xD100003F, 0x01727D30
.long 0xE050D000, 0x8018683F
.long 0xBF8C0F7E
.long 0x026CE136
.long 0x81858105
.long 0xBF05CE05
.long 0xBF850193
.long 0x80605A60
.long 0x82615B61
.long 0xD0C6005C, 0x00000A80
.long 0xD100003F, 0x01727D30
.long 0xE050D000, 0x8018703F
.long 0xBF8C0F7E
.long 0x026CF136
.long 0x81858105
.long 0xBF05CE05
.long 0xBF850186
	;; [unrolled: 10-line block ×15, first 2 shown]
.long 0x026CE136
.long 0xBF8C0F7B
	;; [unrolled: 1-line block ×221, first 2 shown]
.long 0x7E7C02FF, 0x80000000
.long 0xBEE00016
.long 0xBEE10017
	;; [unrolled: 1-line block ×4, first 2 shown]
.long 0xE050D000, 0x80183D37
.long 0xBE850032
.long 0x81858105
	;; [unrolled: 1-line block ×6, first 2 shown]
.long 0xE050D000, 0x80186837
.long 0x81858105
.long 0x80605A60
.long 0x82615B61
.long 0xBF008005
.long 0xBF8501FF
.long 0xE050D000, 0x80187037
.long 0x81858105
.long 0x80605A60
.long 0x82615B61
.long 0xBF008005
.long 0xBF8501F3
	;; [unrolled: 6-line block ×15, first 2 shown]
.long 0x80605A60
.long 0x82615B61
.long 0xD0C6005C, 0x00000A80
.long 0xD100003F, 0x01727D37
.long 0xE050D000, 0x8018683F
.long 0xBF8C0F7E
.long 0x027AE13D
.long 0x81858105
.long 0xBF05CE05
.long 0xBF850193
.long 0x80605A60
.long 0x82615B61
.long 0xD0C6005C, 0x00000A80
.long 0xD100003F, 0x01727D37
.long 0xE050D000, 0x8018703F
.long 0xBF8C0F7E
.long 0x027AF13D
.long 0x81858105
.long 0xBF05CE05
.long 0xBF850186
	;; [unrolled: 10-line block ×15, first 2 shown]
.long 0x027AE13D
.long 0xBF8C0F7B
	;; [unrolled: 1-line block ×230, first 2 shown]
.long 0xD0CC0038, 0x0001004A
.long 0xD100000B, 0x00E216F2
.long 0x0A18190B
.long 0x0218190A
.long 0xD044006A, 0x00007D0C
.long 0x1418183F
.long 0x00181880
.long 0x7E18150C
.long 0xE068D000, 0x80140C07
.long 0xBF800000
.long 0xD0CC0038, 0x0001004A
.long 0xD1000012, 0x00E224F2
.long 0x0A262712
.long 0x02262711
.long 0xD044006A, 0x00007D13
.long 0x1426263F
.long 0x00262680
.long 0x7E261513
.long 0xE068D000, 0x8014130E
.long 0xBF800000
	;; [unrolled: 10-line block ×8, first 2 shown]
.long 0xBF800000
.long 0xBED41C00
.long 0x815684FF, 0x0001BC04
.long 0x80545654
.long 0x82558055
	;; [unrolled: 1-line block ×3, first 2 shown]
.long 0x7E7C02FF, 0x80000000
.long 0xD0C90054, 0x00003900
	;; [unrolled: 1-line block ×3, first 2 shown]
.long 0x86D85854
.long 0x925402FF, 0x00000080
.long 0xD1350008, 0x0000A900
.long 0x24101082
.long 0xD1000008, 0x0162113E
.long 0xBF8CC07F
.long 0xBF8A0000
.long 0xD86C0000, 0x0A000008
.long 0x24120082
.long 0xE0501000, 0x80120B09
.long 0xD1FE0006, 0x020A0103
.long 0xD1000006, 0x01620D3E
.long 0xD1FE0007, 0x02060103
.long 0xD1000007, 0x01620F3E
.long 0xD1196A04, 0x00010300
.long 0xD0C90054, 0x00003904
.long 0xD0C90058, 0x00003B01
.long 0x86D85854
.long 0x925402FF, 0x00000080
.long 0xD135000F, 0x0000A904
.long 0x241E1E82
.long 0xD100000F, 0x01621F3E
.long 0xD86C0000, 0x1100000F
.long 0x24200882
.long 0xE0501000, 0x80121210
.long 0xD1FE000D, 0x020A0903
.long 0xD100000D, 0x01621B3E
.long 0xD1FE000E, 0x02060903
.long 0xD100000E, 0x01621D3E
.long 0xD1196A04, 0x00010500
.long 0xD0C90054, 0x00003904
.long 0xD0C90058, 0x00003B01
.long 0x86D85854
.long 0x925402FF, 0x00000080
.long 0xD1350016, 0x0000A904
.long 0x242C2C82
.long 0xD1000016, 0x01622D3E
	;; [unrolled: 15-line block ×7, first 2 shown]
.long 0xD86C0000, 0x3B000039
.long 0x24740882
.long 0xE0501000, 0x80123C3A
.long 0xD1FE0037, 0x020A0903
	;; [unrolled: 1-line block ×13, first 2 shown]
.long 0xBF800001
.long 0xE070D000, 0x80030C06
.long 0xE070D000, 0x8003130D
	;; [unrolled: 1-line block ×8, first 2 shown]
.long 0xBF800000
.long 0x92421415
	;; [unrolled: 1-line block ×16, first 2 shown]
.long 0xC2330CCC, 0x00000000
.long 0x965F811C
.long 0x925E811C
	;; [unrolled: 1-line block ×15, first 2 shown]
.long 0x7E7C02FF, 0x80000000
.long 0xBEE00016
.long 0xBEE10017
	;; [unrolled: 1-line block ×7, first 2 shown]
.long 0xE050D000, 0x80180C06
.long 0xBE850032
.long 0x81858105
	;; [unrolled: 1-line block ×6, first 2 shown]
.long 0xE050D000, 0x80186806
.long 0x81858105
.long 0x80605A60
.long 0x82615B61
.long 0xBF008005
.long 0xBF8501FF
.long 0xE050D000, 0x80187006
.long 0x81858105
.long 0x80605A60
.long 0x82615B61
.long 0xBF008005
.long 0xBF8501F3
	;; [unrolled: 6-line block ×15, first 2 shown]
.long 0x80605A60
.long 0x82615B61
.long 0xD0C6005C, 0x00000A80
.long 0xD100003F, 0x01727D06
.long 0xE050D000, 0x8018683F
.long 0xBF8C0F7E
.long 0x0218E10C
.long 0x81858105
.long 0xBF05CE05
.long 0xBF850193
.long 0x80605A60
.long 0x82615B61
.long 0xD0C6005C, 0x00000A80
.long 0xD100003F, 0x01727D06
.long 0xE050D000, 0x8018703F
.long 0xBF8C0F7E
.long 0x0218F10C
.long 0x81858105
.long 0xBF05CE05
.long 0xBF850186
	;; [unrolled: 10-line block ×15, first 2 shown]
.long 0x0218E10C
.long 0xBF8C0F7B
	;; [unrolled: 1-line block ×221, first 2 shown]
.long 0x7E7C02FF, 0x80000000
.long 0xBEE00016
.long 0xBEE10017
	;; [unrolled: 1-line block ×4, first 2 shown]
.long 0xE050D000, 0x8018130D
.long 0xBE850032
.long 0x81858105
	;; [unrolled: 1-line block ×6, first 2 shown]
.long 0xE050D000, 0x8018680D
.long 0x81858105
.long 0x80605A60
.long 0x82615B61
.long 0xBF008005
.long 0xBF8501FF
.long 0xE050D000, 0x8018700D
.long 0x81858105
.long 0x80605A60
.long 0x82615B61
.long 0xBF008005
.long 0xBF8501F3
	;; [unrolled: 6-line block ×15, first 2 shown]
.long 0x80605A60
.long 0x82615B61
.long 0xD0C6005C, 0x00000A80
.long 0xD100003F, 0x01727D0D
.long 0xE050D000, 0x8018683F
.long 0xBF8C0F7E
.long 0x0226E113
.long 0x81858105
.long 0xBF05CE05
.long 0xBF850193
.long 0x80605A60
.long 0x82615B61
.long 0xD0C6005C, 0x00000A80
.long 0xD100003F, 0x01727D0D
.long 0xE050D000, 0x8018703F
.long 0xBF8C0F7E
.long 0x0226F113
.long 0x81858105
.long 0xBF05CE05
.long 0xBF850186
.long 0x80605A60
.long 0x82615B61
.long 0xD0C6005C, 0x00000A80
.long 0xD100003F, 0x01727D0D
.long 0xE050D000, 0x8018783F
.long 0xBF8C0F7E
.long 0x02270113
.long 0x81858105
.long 0xBF05CE05
.long 0xBF850179
.long 0x80605A60
.long 0x82615B61
.long 0xD0C6005C, 0x00000A80
.long 0xD100003F, 0x01727D0D
.long 0xE050D000, 0x8018803F
.long 0xBF8C0F7E
.long 0x02271113
.long 0x81858105
.long 0xBF05CE05
.long 0xBF85016C
.long 0x80605A60
.long 0x82615B61
.long 0xD0C6005C, 0x00000A80
.long 0xD100003F, 0x01727D0D
.long 0xE050D000, 0x8018883F
.long 0xBF8C0F7E
.long 0x02272113
.long 0x81858105
.long 0xBF05CE05
.long 0xBF85015F
.long 0x80605A60
.long 0x82615B61
.long 0xD0C6005C, 0x00000A80
.long 0xD100003F, 0x01727D0D
.long 0xE050D000, 0x8018903F
.long 0xBF8C0F7E
.long 0x02273113
.long 0x81858105
.long 0xBF05CE05
.long 0xBF850152
.long 0x80605A60
.long 0x82615B61
.long 0xD0C6005C, 0x00000A80
.long 0xD100003F, 0x01727D0D
.long 0xE050D000, 0x8018983F
.long 0xBF8C0F7E
.long 0x02274113
.long 0x81858105
.long 0xBF05CE05
.long 0xBF850145
.long 0x80605A60
.long 0x82615B61
.long 0xD0C6005C, 0x00000A80
.long 0xD100003F, 0x01727D0D
.long 0xE050D000, 0x8018A03F
.long 0xBF8C0F7E
.long 0x02275113
.long 0x81858105
.long 0xBF05CE05
.long 0xBF850138
.long 0x80605A60
.long 0x82615B61
.long 0xD0C6005C, 0x00000A80
.long 0xD100003F, 0x01727D0D
.long 0xE050D000, 0x8018A83F
.long 0xBF8C0F7E
.long 0x02276113
.long 0x81858105
.long 0xBF05CE05
.long 0xBF85012B
.long 0x80605A60
.long 0x82615B61
.long 0xD0C6005C, 0x00000A80
.long 0xD100003F, 0x01727D0D
.long 0xE050D000, 0x8018B03F
.long 0xBF8C0F7E
.long 0x02277113
.long 0x81858105
.long 0xBF05CE05
.long 0xBF85011E
.long 0x80605A60
.long 0x82615B61
.long 0xD0C6005C, 0x00000A80
.long 0xD100003F, 0x01727D0D
.long 0xE050D000, 0x8018B83F
.long 0xBF8C0F7E
.long 0x02278113
.long 0x81858105
.long 0xBF05CE05
.long 0xBF850111
.long 0x80605A60
.long 0x82615B61
.long 0xD0C6005C, 0x00000A80
.long 0xD100003F, 0x01727D0D
.long 0xE050D000, 0x8018C03F
.long 0xBF8C0F7E
.long 0x02279113
.long 0x81858105
.long 0xBF05CE05
.long 0xBF850104
.long 0x80605A60
.long 0x82615B61
.long 0xD0C6005C, 0x00000A80
.long 0xD100003F, 0x01727D0D
.long 0xE050D000, 0x8018C83F
.long 0xBF8C0F7E
.long 0x0227A113
.long 0x81858105
.long 0xBF05CE05
.long 0xBF8500F7
.long 0x80605A60
.long 0x82615B61
.long 0xD0C6005C, 0x00000A80
.long 0xD100003F, 0x01727D0D
.long 0xE050D000, 0x8018D03F
.long 0xBF8C0F7E
.long 0x0227B113
.long 0x81858105
.long 0xBF05CE05
.long 0xBF8500EA
.long 0x80605A60
.long 0x82615B61
.long 0xD0C6005C, 0x00000A80
.long 0xD100003F, 0x01727D0D
.long 0xE050D000, 0x8018D83F
.long 0xBF02CE05
.long 0xBF85FF3B
.long 0xBF8C0F7D
.long 0x0226D113
.long 0xBF8C0F7C
.long 0x0226E113
.long 0xBF8C0F7B
	;; [unrolled: 1-line block ×221, first 2 shown]
.long 0x7E7C02FF, 0x80000000
.long 0xBEE00016
.long 0xBEE10017
.long 0xBEE2000E
.long 0xBEE3000F
.long 0xE050D000, 0x80181A14
.long 0xBE850032
.long 0x81858105
	;; [unrolled: 1-line block ×6, first 2 shown]
.long 0xE050D000, 0x80186814
.long 0x81858105
.long 0x80605A60
.long 0x82615B61
.long 0xBF008005
.long 0xBF8501FF
.long 0xE050D000, 0x80187014
.long 0x81858105
.long 0x80605A60
.long 0x82615B61
.long 0xBF008005
.long 0xBF8501F3
	;; [unrolled: 6-line block ×15, first 2 shown]
.long 0x80605A60
.long 0x82615B61
.long 0xD0C6005C, 0x00000A80
.long 0xD100003F, 0x01727D14
.long 0xE050D000, 0x8018683F
.long 0xBF8C0F7E
.long 0x0234E11A
.long 0x81858105
.long 0xBF05CE05
.long 0xBF850193
.long 0x80605A60
.long 0x82615B61
.long 0xD0C6005C, 0x00000A80
.long 0xD100003F, 0x01727D14
.long 0xE050D000, 0x8018703F
.long 0xBF8C0F7E
.long 0x0234F11A
.long 0x81858105
.long 0xBF05CE05
.long 0xBF850186
	;; [unrolled: 10-line block ×15, first 2 shown]
.long 0x0234E11A
.long 0xBF8C0F7B
	;; [unrolled: 1-line block ×221, first 2 shown]
.long 0x7E7C02FF, 0x80000000
.long 0xBEE00016
.long 0xBEE10017
	;; [unrolled: 1-line block ×4, first 2 shown]
.long 0xE050D000, 0x8018211B
.long 0xBE850032
.long 0x81858105
.long 0x80605A60
.long 0x82615B61
.long 0xBF008005
.long 0xBF850209
.long 0xE050D000, 0x8018681B
.long 0x81858105
.long 0x80605A60
.long 0x82615B61
.long 0xBF008005
.long 0xBF8501FF
.long 0xE050D000, 0x8018701B
.long 0x81858105
.long 0x80605A60
.long 0x82615B61
.long 0xBF008005
.long 0xBF8501F3
	;; [unrolled: 6-line block ×15, first 2 shown]
.long 0x80605A60
.long 0x82615B61
.long 0xD0C6005C, 0x00000A80
.long 0xD100003F, 0x01727D1B
.long 0xE050D000, 0x8018683F
.long 0xBF8C0F7E
.long 0x0242E121
.long 0x81858105
.long 0xBF05CE05
.long 0xBF850193
.long 0x80605A60
.long 0x82615B61
.long 0xD0C6005C, 0x00000A80
.long 0xD100003F, 0x01727D1B
.long 0xE050D000, 0x8018703F
.long 0xBF8C0F7E
.long 0x0242F121
.long 0x81858105
.long 0xBF05CE05
.long 0xBF850186
	;; [unrolled: 10-line block ×15, first 2 shown]
.long 0x0242E121
.long 0xBF8C0F7B
	;; [unrolled: 1-line block ×221, first 2 shown]
.long 0x7E7C02FF, 0x80000000
.long 0xBEE00016
.long 0xBEE10017
	;; [unrolled: 1-line block ×4, first 2 shown]
.long 0xE050D000, 0x80182822
.long 0xBE850032
.long 0x81858105
	;; [unrolled: 1-line block ×6, first 2 shown]
.long 0xE050D000, 0x80186822
.long 0x81858105
.long 0x80605A60
.long 0x82615B61
.long 0xBF008005
.long 0xBF8501FF
.long 0xE050D000, 0x80187022
.long 0x81858105
.long 0x80605A60
.long 0x82615B61
.long 0xBF008005
.long 0xBF8501F3
	;; [unrolled: 6-line block ×15, first 2 shown]
.long 0x80605A60
.long 0x82615B61
.long 0xD0C6005C, 0x00000A80
.long 0xD100003F, 0x01727D22
.long 0xE050D000, 0x8018683F
.long 0xBF8C0F7E
.long 0x0250E128
.long 0x81858105
.long 0xBF05CE05
.long 0xBF850193
.long 0x80605A60
.long 0x82615B61
.long 0xD0C6005C, 0x00000A80
.long 0xD100003F, 0x01727D22
.long 0xE050D000, 0x8018703F
.long 0xBF8C0F7E
.long 0x0250F128
.long 0x81858105
.long 0xBF05CE05
.long 0xBF850186
	;; [unrolled: 10-line block ×15, first 2 shown]
.long 0x0250E128
.long 0xBF8C0F7B
.long 0x0250F128
.long 0xBF8C0F7A
.long 0x02510128
.long 0xBF8C0F79
.long 0x02511128
.long 0xBF8C0F78
.long 0x02512128
.long 0xBF8C0F77
.long 0x02513128
.long 0xBF8C0F76
.long 0x02514128
.long 0xBF8C0F75
.long 0x02515128
.long 0xBF8C0F74
.long 0x02516128
.long 0xBF8C0F73
.long 0x02517128
.long 0xBF8C0F72
.long 0x02518128
.long 0xBF8C0F71
.long 0x02519128
.long 0xBF8C0F70
.long 0x0251A128
.long 0xBF8200C3
.long 0xBF8C0F7C
.long 0x0250D128
.long 0xBF8C0F7B
.long 0x0250E128
.long 0xBF8C0F7A
.long 0x0250F128
.long 0xBF8C0F79
.long 0x02510128
.long 0xBF8C0F78
.long 0x02511128
.long 0xBF8C0F77
.long 0x02512128
.long 0xBF8C0F76
.long 0x02513128
.long 0xBF8C0F75
.long 0x02514128
.long 0xBF8C0F74
.long 0x02515128
.long 0xBF8C0F73
.long 0x02516128
.long 0xBF8C0F72
.long 0x02517128
.long 0xBF8C0F71
.long 0x02518128
.long 0xBF8C0F70
.long 0x02519128
.long 0xBF8200A8
.long 0xBF8C0F7B
.long 0x0250D128
.long 0xBF8C0F7A
.long 0x0250E128
.long 0xBF8C0F79
.long 0x0250F128
.long 0xBF8C0F78
.long 0x02510128
.long 0xBF8C0F77
.long 0x02511128
.long 0xBF8C0F76
.long 0x02512128
.long 0xBF8C0F75
.long 0x02513128
.long 0xBF8C0F74
.long 0x02514128
.long 0xBF8C0F73
.long 0x02515128
.long 0xBF8C0F72
.long 0x02516128
.long 0xBF8C0F71
.long 0x02517128
.long 0xBF8C0F70
.long 0x02518128
.long 0xBF82008F
.long 0xBF8C0F7A
.long 0x0250D128
.long 0xBF8C0F79
.long 0x0250E128
.long 0xBF8C0F78
.long 0x0250F128
.long 0xBF8C0F77
.long 0x02510128
.long 0xBF8C0F76
.long 0x02511128
.long 0xBF8C0F75
.long 0x02512128
.long 0xBF8C0F74
.long 0x02513128
.long 0xBF8C0F73
.long 0x02514128
.long 0xBF8C0F72
.long 0x02515128
.long 0xBF8C0F71
.long 0x02516128
.long 0xBF8C0F70
.long 0x02517128
.long 0xBF820078
.long 0xBF8C0F79
.long 0x0250D128
.long 0xBF8C0F78
.long 0x0250E128
.long 0xBF8C0F77
.long 0x0250F128
.long 0xBF8C0F76
.long 0x02510128
.long 0xBF8C0F75
.long 0x02511128
.long 0xBF8C0F74
.long 0x02512128
.long 0xBF8C0F73
.long 0x02513128
.long 0xBF8C0F72
.long 0x02514128
.long 0xBF8C0F71
.long 0x02515128
.long 0xBF8C0F70
.long 0x02516128
.long 0xBF820063
.long 0xBF8C0F78
.long 0x0250D128
.long 0xBF8C0F77
.long 0x0250E128
.long 0xBF8C0F76
.long 0x0250F128
.long 0xBF8C0F75
.long 0x02510128
.long 0xBF8C0F74
.long 0x02511128
.long 0xBF8C0F73
.long 0x02512128
.long 0xBF8C0F72
.long 0x02513128
.long 0xBF8C0F71
.long 0x02514128
.long 0xBF8C0F70
.long 0x02515128
.long 0xBF820050
.long 0xBF8C0F77
.long 0x0250D128
.long 0xBF8C0F76
.long 0x0250E128
.long 0xBF8C0F75
.long 0x0250F128
.long 0xBF8C0F74
.long 0x02510128
.long 0xBF8C0F73
.long 0x02511128
.long 0xBF8C0F72
.long 0x02512128
.long 0xBF8C0F71
.long 0x02513128
.long 0xBF8C0F70
.long 0x02514128
.long 0xBF82003F
.long 0xBF8C0F76
.long 0x0250D128
.long 0xBF8C0F75
.long 0x0250E128
.long 0xBF8C0F74
.long 0x0250F128
.long 0xBF8C0F73
.long 0x02510128
.long 0xBF8C0F72
.long 0x02511128
.long 0xBF8C0F71
.long 0x02512128
.long 0xBF8C0F70
.long 0x02513128
.long 0xBF820030
.long 0xBF8C0F75
.long 0x0250D128
.long 0xBF8C0F74
.long 0x0250E128
.long 0xBF8C0F73
.long 0x0250F128
.long 0xBF8C0F72
.long 0x02510128
.long 0xBF8C0F71
.long 0x02511128
.long 0xBF8C0F70
.long 0x02512128
.long 0xBF820023
.long 0xBF8C0F74
.long 0x0250D128
.long 0xBF8C0F73
.long 0x0250E128
.long 0xBF8C0F72
.long 0x0250F128
.long 0xBF8C0F71
.long 0x02510128
.long 0xBF8C0F70
.long 0x02511128
.long 0xBF820018
.long 0xBF8C0F73
.long 0x0250D128
.long 0xBF8C0F72
.long 0x0250E128
.long 0xBF8C0F71
.long 0x0250F128
.long 0xBF8C0F70
.long 0x02510128
.long 0xBF82000F
.long 0xBF8C0F72
.long 0x0250D128
.long 0xBF8C0F71
.long 0x0250E128
.long 0xBF8C0F70
.long 0x0250F128
.long 0xBF820008
.long 0xBF8C0F71
.long 0x0250D128
.long 0xBF8C0F70
.long 0x0250E128
.long 0xBF820003
.long 0xBF8C0F70
.long 0x0250D128
.long 0xBF820000
.long 0x7E7C02FF, 0x80000000
.long 0xBEE00016
.long 0xBEE10017
	;; [unrolled: 1-line block ×4, first 2 shown]
.long 0xE050D000, 0x80182F29
.long 0xBE850032
.long 0x81858105
	;; [unrolled: 1-line block ×6, first 2 shown]
.long 0xE050D000, 0x80186829
.long 0x81858105
.long 0x80605A60
.long 0x82615B61
.long 0xBF008005
.long 0xBF8501FF
.long 0xE050D000, 0x80187029
.long 0x81858105
.long 0x80605A60
.long 0x82615B61
.long 0xBF008005
.long 0xBF8501F3
	;; [unrolled: 6-line block ×15, first 2 shown]
.long 0x80605A60
.long 0x82615B61
.long 0xD0C6005C, 0x00000A80
.long 0xD100003F, 0x01727D29
.long 0xE050D000, 0x8018683F
.long 0xBF8C0F7E
.long 0x025EE12F
.long 0x81858105
.long 0xBF05CE05
.long 0xBF850193
.long 0x80605A60
.long 0x82615B61
.long 0xD0C6005C, 0x00000A80
.long 0xD100003F, 0x01727D29
.long 0xE050D000, 0x8018703F
.long 0xBF8C0F7E
.long 0x025EF12F
.long 0x81858105
.long 0xBF05CE05
.long 0xBF850186
	;; [unrolled: 10-line block ×15, first 2 shown]
.long 0x025EE12F
.long 0xBF8C0F7B
	;; [unrolled: 1-line block ×221, first 2 shown]
.long 0x7E7C02FF, 0x80000000
.long 0xBEE00016
.long 0xBEE10017
.long 0xBEE2000E
.long 0xBEE3000F
.long 0xE050D000, 0x80183630
.long 0xBE850032
.long 0x81858105
	;; [unrolled: 1-line block ×6, first 2 shown]
.long 0xE050D000, 0x80186830
.long 0x81858105
.long 0x80605A60
.long 0x82615B61
.long 0xBF008005
.long 0xBF8501FF
.long 0xE050D000, 0x80187030
.long 0x81858105
.long 0x80605A60
.long 0x82615B61
.long 0xBF008005
.long 0xBF8501F3
	;; [unrolled: 6-line block ×15, first 2 shown]
.long 0x80605A60
.long 0x82615B61
.long 0xD0C6005C, 0x00000A80
.long 0xD100003F, 0x01727D30
.long 0xE050D000, 0x8018683F
.long 0xBF8C0F7E
.long 0x026CE136
.long 0x81858105
.long 0xBF05CE05
.long 0xBF850193
.long 0x80605A60
.long 0x82615B61
.long 0xD0C6005C, 0x00000A80
.long 0xD100003F, 0x01727D30
.long 0xE050D000, 0x8018703F
.long 0xBF8C0F7E
.long 0x026CF136
.long 0x81858105
.long 0xBF05CE05
.long 0xBF850186
	;; [unrolled: 10-line block ×15, first 2 shown]
.long 0x026CE136
.long 0xBF8C0F7B
.long 0x026CF136
.long 0xBF8C0F7A
.long 0x026D0136
.long 0xBF8C0F79
.long 0x026D1136
.long 0xBF8C0F78
.long 0x026D2136
.long 0xBF8C0F77
.long 0x026D3136
.long 0xBF8C0F76
.long 0x026D4136
.long 0xBF8C0F75
.long 0x026D5136
.long 0xBF8C0F74
.long 0x026D6136
.long 0xBF8C0F73
.long 0x026D7136
.long 0xBF8C0F72
.long 0x026D8136
.long 0xBF8C0F71
.long 0x026D9136
.long 0xBF8C0F70
.long 0x026DA136
.long 0xBF8200C3
.long 0xBF8C0F7C
.long 0x026CD136
.long 0xBF8C0F7B
.long 0x026CE136
.long 0xBF8C0F7A
.long 0x026CF136
.long 0xBF8C0F79
.long 0x026D0136
.long 0xBF8C0F78
.long 0x026D1136
.long 0xBF8C0F77
.long 0x026D2136
.long 0xBF8C0F76
.long 0x026D3136
.long 0xBF8C0F75
.long 0x026D4136
.long 0xBF8C0F74
.long 0x026D5136
.long 0xBF8C0F73
.long 0x026D6136
.long 0xBF8C0F72
.long 0x026D7136
.long 0xBF8C0F71
.long 0x026D8136
.long 0xBF8C0F70
.long 0x026D9136
.long 0xBF8200A8
.long 0xBF8C0F7B
.long 0x026CD136
.long 0xBF8C0F7A
.long 0x026CE136
.long 0xBF8C0F79
.long 0x026CF136
.long 0xBF8C0F78
.long 0x026D0136
.long 0xBF8C0F77
.long 0x026D1136
.long 0xBF8C0F76
.long 0x026D2136
.long 0xBF8C0F75
.long 0x026D3136
.long 0xBF8C0F74
.long 0x026D4136
.long 0xBF8C0F73
.long 0x026D5136
.long 0xBF8C0F72
.long 0x026D6136
.long 0xBF8C0F71
.long 0x026D7136
.long 0xBF8C0F70
.long 0x026D8136
.long 0xBF82008F
.long 0xBF8C0F7A
.long 0x026CD136
.long 0xBF8C0F79
.long 0x026CE136
.long 0xBF8C0F78
.long 0x026CF136
.long 0xBF8C0F77
.long 0x026D0136
.long 0xBF8C0F76
.long 0x026D1136
.long 0xBF8C0F75
.long 0x026D2136
.long 0xBF8C0F74
.long 0x026D3136
.long 0xBF8C0F73
.long 0x026D4136
.long 0xBF8C0F72
.long 0x026D5136
.long 0xBF8C0F71
.long 0x026D6136
.long 0xBF8C0F70
.long 0x026D7136
.long 0xBF820078
.long 0xBF8C0F79
.long 0x026CD136
.long 0xBF8C0F78
.long 0x026CE136
.long 0xBF8C0F77
.long 0x026CF136
.long 0xBF8C0F76
.long 0x026D0136
.long 0xBF8C0F75
.long 0x026D1136
.long 0xBF8C0F74
.long 0x026D2136
.long 0xBF8C0F73
.long 0x026D3136
.long 0xBF8C0F72
.long 0x026D4136
.long 0xBF8C0F71
.long 0x026D5136
.long 0xBF8C0F70
.long 0x026D6136
.long 0xBF820063
.long 0xBF8C0F78
.long 0x026CD136
.long 0xBF8C0F77
.long 0x026CE136
.long 0xBF8C0F76
.long 0x026CF136
.long 0xBF8C0F75
.long 0x026D0136
.long 0xBF8C0F74
.long 0x026D1136
.long 0xBF8C0F73
.long 0x026D2136
.long 0xBF8C0F72
.long 0x026D3136
.long 0xBF8C0F71
.long 0x026D4136
.long 0xBF8C0F70
.long 0x026D5136
.long 0xBF820050
.long 0xBF8C0F77
.long 0x026CD136
.long 0xBF8C0F76
.long 0x026CE136
.long 0xBF8C0F75
.long 0x026CF136
.long 0xBF8C0F74
.long 0x026D0136
.long 0xBF8C0F73
.long 0x026D1136
.long 0xBF8C0F72
.long 0x026D2136
.long 0xBF8C0F71
.long 0x026D3136
.long 0xBF8C0F70
.long 0x026D4136
.long 0xBF82003F
.long 0xBF8C0F76
.long 0x026CD136
.long 0xBF8C0F75
.long 0x026CE136
.long 0xBF8C0F74
.long 0x026CF136
.long 0xBF8C0F73
.long 0x026D0136
.long 0xBF8C0F72
.long 0x026D1136
.long 0xBF8C0F71
.long 0x026D2136
.long 0xBF8C0F70
.long 0x026D3136
.long 0xBF820030
.long 0xBF8C0F75
.long 0x026CD136
.long 0xBF8C0F74
.long 0x026CE136
.long 0xBF8C0F73
.long 0x026CF136
.long 0xBF8C0F72
.long 0x026D0136
.long 0xBF8C0F71
.long 0x026D1136
.long 0xBF8C0F70
.long 0x026D2136
.long 0xBF820023
.long 0xBF8C0F74
.long 0x026CD136
.long 0xBF8C0F73
.long 0x026CE136
.long 0xBF8C0F72
.long 0x026CF136
.long 0xBF8C0F71
.long 0x026D0136
.long 0xBF8C0F70
.long 0x026D1136
.long 0xBF820018
.long 0xBF8C0F73
.long 0x026CD136
.long 0xBF8C0F72
.long 0x026CE136
.long 0xBF8C0F71
.long 0x026CF136
.long 0xBF8C0F70
.long 0x026D0136
.long 0xBF82000F
.long 0xBF8C0F72
.long 0x026CD136
.long 0xBF8C0F71
.long 0x026CE136
.long 0xBF8C0F70
.long 0x026CF136
.long 0xBF820008
.long 0xBF8C0F71
.long 0x026CD136
.long 0xBF8C0F70
.long 0x026CE136
.long 0xBF820003
.long 0xBF8C0F70
.long 0x026CD136
.long 0xBF820000
.long 0x7E7C02FF, 0x80000000
.long 0xBEE00016
.long 0xBEE10017
	;; [unrolled: 1-line block ×4, first 2 shown]
.long 0xE050D000, 0x80183D37
.long 0xBE850032
.long 0x81858105
	;; [unrolled: 1-line block ×6, first 2 shown]
.long 0xE050D000, 0x80186837
.long 0x81858105
.long 0x80605A60
.long 0x82615B61
.long 0xBF008005
.long 0xBF8501FF
.long 0xE050D000, 0x80187037
.long 0x81858105
.long 0x80605A60
.long 0x82615B61
.long 0xBF008005
.long 0xBF8501F3
	;; [unrolled: 6-line block ×15, first 2 shown]
.long 0x80605A60
.long 0x82615B61
.long 0xD0C6005C, 0x00000A80
.long 0xD100003F, 0x01727D37
.long 0xE050D000, 0x8018683F
.long 0xBF8C0F7E
.long 0x027AE13D
.long 0x81858105
.long 0xBF05CE05
.long 0xBF850193
.long 0x80605A60
.long 0x82615B61
.long 0xD0C6005C, 0x00000A80
.long 0xD100003F, 0x01727D37
.long 0xE050D000, 0x8018703F
.long 0xBF8C0F7E
.long 0x027AF13D
.long 0x81858105
.long 0xBF05CE05
.long 0xBF850186
	;; [unrolled: 10-line block ×15, first 2 shown]
.long 0x027AE13D
.long 0xBF8C0F7B
	;; [unrolled: 1-line block ×230, first 2 shown]
.long 0xD0CC0038, 0x0001004A
.long 0xD100000B, 0x00E216F2
.long 0x0A18190B
.long 0x0218190A
.long 0x0A0818FF, 0x3D372713
.long 0xD1CB0004, 0x03CA090C
.long 0x0A08090C
.long 0x0A0808FF, 0x40135761
.long 0x7E084104
.long 0xBF800000
.long 0x020808F2
.long 0x7E084504
.long 0xBF800000
.long 0xD1CB0004, 0x03D208F5
.long 0x0A08090C
.long 0x0A1808F0
.long 0x7E18150C
.long 0xE068D000, 0x80140C07
.long 0xBF800000
.long 0xD0CC0038, 0x0001004A
.long 0xD1000012, 0x00E224F2
.long 0x0A262712
.long 0x02262711
.long 0x0A0826FF, 0x3D372713
.long 0xD1CB0004, 0x03CA0913
.long 0x0A080913
.long 0x0A0808FF, 0x40135761
.long 0x7E084104
.long 0xBF800000
.long 0x020808F2
.long 0x7E084504
.long 0xBF800000
.long 0xD1CB0004, 0x03D208F5
.long 0x0A080913
.long 0x0A2608F0
.long 0x7E261513
.long 0xE068D000, 0x8014130E
.long 0xBF800000
	;; [unrolled: 19-line block ×8, first 2 shown]
.long 0xBF800000
.long 0xBED41C00
.long 0x815684FF, 0x00017128
.long 0x80545654
.long 0x82558055
	;; [unrolled: 1-line block ×3, first 2 shown]
.long 0x7E7C02FF, 0x80000000
.long 0xD0C90054, 0x00003900
.long 0xD0C90058, 0x00003B01
.long 0x86D85854
.long 0x925402FF, 0x00000080
.long 0xD1350008, 0x0000A900
.long 0x24101082
.long 0xD1000008, 0x0162113E
.long 0xBF8CC07F
.long 0xBF8A0000
.long 0xD86C0000, 0x0A000008
.long 0x24120082
.long 0xE0501000, 0x80120B09
.long 0xD1FE0006, 0x020A0103
.long 0xD1000006, 0x01620D3E
.long 0xD1FE0007, 0x02060103
.long 0xD1000007, 0x01620F3E
.long 0xD1196A04, 0x00010300
.long 0xD0C90054, 0x00003904
.long 0xD0C90058, 0x00003B01
.long 0x86D85854
.long 0x925402FF, 0x00000080
.long 0xD135000F, 0x0000A904
.long 0x241E1E82
.long 0xD100000F, 0x01621F3E
.long 0xD86C0000, 0x1100000F
.long 0x24200882
.long 0xE0501000, 0x80121210
.long 0xD1FE000D, 0x020A0903
.long 0xD100000D, 0x01621B3E
.long 0xD1FE000E, 0x02060903
.long 0xD100000E, 0x01621D3E
.long 0xD1196A04, 0x00010500
.long 0xD0C90054, 0x00003904
.long 0xD0C90058, 0x00003B01
.long 0x86D85854
.long 0x925402FF, 0x00000080
.long 0xD1350016, 0x0000A904
.long 0x242C2C82
.long 0xD1000016, 0x01622D3E
	;; [unrolled: 15-line block ×7, first 2 shown]
.long 0xD86C0000, 0x3B000039
.long 0x24740882
.long 0xE0501000, 0x80123C3A
.long 0xD1FE0037, 0x020A0903
	;; [unrolled: 1-line block ×13, first 2 shown]
.long 0xBF800001
.long 0xE070D000, 0x80030C06
.long 0xE070D000, 0x8003130D
	;; [unrolled: 1-line block ×8, first 2 shown]
.long 0xBF800000
.long 0x92421415
	;; [unrolled: 1-line block ×16, first 2 shown]
.long 0xC2330CCC, 0x00000000
.long 0x965F811C
.long 0x925E811C
	;; [unrolled: 1-line block ×15, first 2 shown]
.long 0x7E7C02FF, 0x80000000
.long 0xBEE00016
.long 0xBEE10017
	;; [unrolled: 1-line block ×7, first 2 shown]
.long 0xE050D000, 0x80180C06
.long 0xBE850032
.long 0x81858105
	;; [unrolled: 1-line block ×6, first 2 shown]
.long 0xE050D000, 0x80186806
.long 0x81858105
.long 0x80605A60
.long 0x82615B61
.long 0xBF008005
.long 0xBF8501FF
.long 0xE050D000, 0x80187006
.long 0x81858105
.long 0x80605A60
.long 0x82615B61
.long 0xBF008005
.long 0xBF8501F3
	;; [unrolled: 6-line block ×15, first 2 shown]
.long 0x80605A60
.long 0x82615B61
.long 0xD0C6005C, 0x00000A80
.long 0xD100003F, 0x01727D06
.long 0xE050D000, 0x8018683F
.long 0xBF8C0F7E
.long 0x0218E10C
.long 0x81858105
.long 0xBF05CE05
.long 0xBF850193
.long 0x80605A60
.long 0x82615B61
.long 0xD0C6005C, 0x00000A80
.long 0xD100003F, 0x01727D06
.long 0xE050D000, 0x8018703F
.long 0xBF8C0F7E
.long 0x0218F10C
.long 0x81858105
.long 0xBF05CE05
.long 0xBF850186
	;; [unrolled: 10-line block ×15, first 2 shown]
.long 0x0218E10C
.long 0xBF8C0F7B
	;; [unrolled: 1-line block ×221, first 2 shown]
.long 0x7E7C02FF, 0x80000000
.long 0xBEE00016
.long 0xBEE10017
	;; [unrolled: 1-line block ×4, first 2 shown]
.long 0xE050D000, 0x8018130D
.long 0xBE850032
.long 0x81858105
	;; [unrolled: 1-line block ×6, first 2 shown]
.long 0xE050D000, 0x8018680D
.long 0x81858105
.long 0x80605A60
.long 0x82615B61
.long 0xBF008005
.long 0xBF8501FF
.long 0xE050D000, 0x8018700D
.long 0x81858105
.long 0x80605A60
.long 0x82615B61
.long 0xBF008005
.long 0xBF8501F3
	;; [unrolled: 6-line block ×15, first 2 shown]
.long 0x80605A60
.long 0x82615B61
.long 0xD0C6005C, 0x00000A80
.long 0xD100003F, 0x01727D0D
.long 0xE050D000, 0x8018683F
.long 0xBF8C0F7E
.long 0x0226E113
.long 0x81858105
.long 0xBF05CE05
.long 0xBF850193
.long 0x80605A60
.long 0x82615B61
.long 0xD0C6005C, 0x00000A80
.long 0xD100003F, 0x01727D0D
.long 0xE050D000, 0x8018703F
.long 0xBF8C0F7E
.long 0x0226F113
.long 0x81858105
.long 0xBF05CE05
.long 0xBF850186
	;; [unrolled: 10-line block ×15, first 2 shown]
.long 0x0226E113
.long 0xBF8C0F7B
	;; [unrolled: 1-line block ×221, first 2 shown]
.long 0x7E7C02FF, 0x80000000
.long 0xBEE00016
.long 0xBEE10017
	;; [unrolled: 1-line block ×4, first 2 shown]
.long 0xE050D000, 0x80181A14
.long 0xBE850032
.long 0x81858105
	;; [unrolled: 1-line block ×6, first 2 shown]
.long 0xE050D000, 0x80186814
.long 0x81858105
.long 0x80605A60
.long 0x82615B61
.long 0xBF008005
.long 0xBF8501FF
.long 0xE050D000, 0x80187014
.long 0x81858105
.long 0x80605A60
.long 0x82615B61
.long 0xBF008005
.long 0xBF8501F3
.long 0xE050D000, 0x80187814
.long 0x81858105
.long 0x80605A60
.long 0x82615B61
.long 0xBF008005
.long 0xBF8501E5
.long 0xE050D000, 0x80188014
.long 0x81858105
.long 0x80605A60
.long 0x82615B61
.long 0xBF008005
.long 0xBF8501D5
.long 0xE050D000, 0x80188814
.long 0x81858105
.long 0x80605A60
.long 0x82615B61
.long 0xBF008005
.long 0xBF8501C3
.long 0xE050D000, 0x80189014
.long 0x81858105
.long 0x80605A60
.long 0x82615B61
.long 0xBF008005
.long 0xBF8501AF
.long 0xE050D000, 0x80189814
.long 0x81858105
.long 0x80605A60
.long 0x82615B61
.long 0xBF008005
.long 0xBF850199
.long 0xE050D000, 0x8018A014
.long 0x81858105
.long 0x80605A60
.long 0x82615B61
.long 0xBF008005
.long 0xBF850181
.long 0xE050D000, 0x8018A814
.long 0x81858105
.long 0x80605A60
.long 0x82615B61
.long 0xBF008005
.long 0xBF850167
.long 0xE050D000, 0x8018B014
.long 0x81858105
.long 0x80605A60
.long 0x82615B61
.long 0xBF008005
.long 0xBF85014B
.long 0xE050D000, 0x8018B814
.long 0x81858105
.long 0x80605A60
.long 0x82615B61
.long 0xBF008005
.long 0xBF85012D
.long 0xE050D000, 0x8018C014
.long 0x81858105
.long 0x80605A60
.long 0x82615B61
.long 0xBF008005
.long 0xBF85010D
.long 0xE050D000, 0x8018C814
.long 0x81858105
.long 0x80605A60
.long 0x82615B61
.long 0xBF008005
.long 0xBF8500EB
.long 0xE050D000, 0x8018D014
.long 0x81858105
.long 0x80605A60
.long 0x82615B61
.long 0xBF008005
.long 0xBF8500C7
.long 0xE050D000, 0x8018D814
.long 0xBF8C0F7E
.long 0x0234D11A
.long 0x81858105
.long 0xBF05CE05
.long 0xBF8501A0
.long 0x80605A60
.long 0x82615B61
.long 0xD0C6005C, 0x00000A80
.long 0xD100003F, 0x01727D14
.long 0xE050D000, 0x8018683F
.long 0xBF8C0F7E
.long 0x0234E11A
.long 0x81858105
.long 0xBF05CE05
.long 0xBF850193
.long 0x80605A60
.long 0x82615B61
.long 0xD0C6005C, 0x00000A80
.long 0xD100003F, 0x01727D14
.long 0xE050D000, 0x8018703F
.long 0xBF8C0F7E
.long 0x0234F11A
.long 0x81858105
.long 0xBF05CE05
.long 0xBF850186
	;; [unrolled: 10-line block ×15, first 2 shown]
.long 0x0234E11A
.long 0xBF8C0F7B
	;; [unrolled: 1-line block ×221, first 2 shown]
.long 0x7E7C02FF, 0x80000000
.long 0xBEE00016
.long 0xBEE10017
	;; [unrolled: 1-line block ×4, first 2 shown]
.long 0xE050D000, 0x8018211B
.long 0xBE850032
.long 0x81858105
	;; [unrolled: 1-line block ×6, first 2 shown]
.long 0xE050D000, 0x8018681B
.long 0x81858105
.long 0x80605A60
.long 0x82615B61
.long 0xBF008005
.long 0xBF8501FF
.long 0xE050D000, 0x8018701B
.long 0x81858105
.long 0x80605A60
.long 0x82615B61
.long 0xBF008005
.long 0xBF8501F3
	;; [unrolled: 6-line block ×15, first 2 shown]
.long 0x80605A60
.long 0x82615B61
.long 0xD0C6005C, 0x00000A80
.long 0xD100003F, 0x01727D1B
.long 0xE050D000, 0x8018683F
.long 0xBF8C0F7E
.long 0x0242E121
.long 0x81858105
.long 0xBF05CE05
.long 0xBF850193
.long 0x80605A60
.long 0x82615B61
.long 0xD0C6005C, 0x00000A80
.long 0xD100003F, 0x01727D1B
.long 0xE050D000, 0x8018703F
.long 0xBF8C0F7E
.long 0x0242F121
.long 0x81858105
.long 0xBF05CE05
.long 0xBF850186
	;; [unrolled: 10-line block ×15, first 2 shown]
.long 0x0242E121
.long 0xBF8C0F7B
	;; [unrolled: 1-line block ×221, first 2 shown]
.long 0x7E7C02FF, 0x80000000
.long 0xBEE00016
.long 0xBEE10017
	;; [unrolled: 1-line block ×4, first 2 shown]
.long 0xE050D000, 0x80182822
.long 0xBE850032
.long 0x81858105
	;; [unrolled: 1-line block ×6, first 2 shown]
.long 0xE050D000, 0x80186822
.long 0x81858105
.long 0x80605A60
.long 0x82615B61
.long 0xBF008005
.long 0xBF8501FF
.long 0xE050D000, 0x80187022
.long 0x81858105
.long 0x80605A60
.long 0x82615B61
.long 0xBF008005
.long 0xBF8501F3
.long 0xE050D000, 0x80187822
.long 0x81858105
.long 0x80605A60
.long 0x82615B61
.long 0xBF008005
.long 0xBF8501E5
.long 0xE050D000, 0x80188022
.long 0x81858105
.long 0x80605A60
.long 0x82615B61
.long 0xBF008005
.long 0xBF8501D5
.long 0xE050D000, 0x80188822
.long 0x81858105
.long 0x80605A60
.long 0x82615B61
.long 0xBF008005
.long 0xBF8501C3
.long 0xE050D000, 0x80189022
.long 0x81858105
.long 0x80605A60
.long 0x82615B61
.long 0xBF008005
.long 0xBF8501AF
.long 0xE050D000, 0x80189822
.long 0x81858105
.long 0x80605A60
.long 0x82615B61
.long 0xBF008005
.long 0xBF850199
.long 0xE050D000, 0x8018A022
.long 0x81858105
.long 0x80605A60
.long 0x82615B61
.long 0xBF008005
.long 0xBF850181
.long 0xE050D000, 0x8018A822
.long 0x81858105
.long 0x80605A60
.long 0x82615B61
.long 0xBF008005
.long 0xBF850167
.long 0xE050D000, 0x8018B022
.long 0x81858105
.long 0x80605A60
.long 0x82615B61
.long 0xBF008005
.long 0xBF85014B
.long 0xE050D000, 0x8018B822
.long 0x81858105
.long 0x80605A60
.long 0x82615B61
.long 0xBF008005
.long 0xBF85012D
.long 0xE050D000, 0x8018C022
.long 0x81858105
.long 0x80605A60
.long 0x82615B61
.long 0xBF008005
.long 0xBF85010D
.long 0xE050D000, 0x8018C822
.long 0x81858105
.long 0x80605A60
.long 0x82615B61
.long 0xBF008005
.long 0xBF8500EB
.long 0xE050D000, 0x8018D022
.long 0x81858105
.long 0x80605A60
.long 0x82615B61
.long 0xBF008005
.long 0xBF8500C7
.long 0xE050D000, 0x8018D822
.long 0xBF8C0F7E
.long 0x0250D128
.long 0x81858105
.long 0xBF05CE05
.long 0xBF8501A0
.long 0x80605A60
.long 0x82615B61
.long 0xD0C6005C, 0x00000A80
.long 0xD100003F, 0x01727D22
.long 0xE050D000, 0x8018683F
.long 0xBF8C0F7E
.long 0x0250E128
.long 0x81858105
.long 0xBF05CE05
.long 0xBF850193
.long 0x80605A60
.long 0x82615B61
.long 0xD0C6005C, 0x00000A80
.long 0xD100003F, 0x01727D22
.long 0xE050D000, 0x8018703F
.long 0xBF8C0F7E
.long 0x0250F128
.long 0x81858105
.long 0xBF05CE05
.long 0xBF850186
	;; [unrolled: 10-line block ×15, first 2 shown]
.long 0x0250E128
.long 0xBF8C0F7B
	;; [unrolled: 1-line block ×221, first 2 shown]
.long 0x7E7C02FF, 0x80000000
.long 0xBEE00016
.long 0xBEE10017
	;; [unrolled: 1-line block ×4, first 2 shown]
.long 0xE050D000, 0x80182F29
.long 0xBE850032
.long 0x81858105
.long 0x80605A60
.long 0x82615B61
.long 0xBF008005
.long 0xBF850209
.long 0xE050D000, 0x80186829
.long 0x81858105
.long 0x80605A60
.long 0x82615B61
.long 0xBF008005
.long 0xBF8501FF
.long 0xE050D000, 0x80187029
.long 0x81858105
.long 0x80605A60
.long 0x82615B61
.long 0xBF008005
.long 0xBF8501F3
	;; [unrolled: 6-line block ×15, first 2 shown]
.long 0x80605A60
.long 0x82615B61
.long 0xD0C6005C, 0x00000A80
.long 0xD100003F, 0x01727D29
.long 0xE050D000, 0x8018683F
.long 0xBF8C0F7E
.long 0x025EE12F
.long 0x81858105
.long 0xBF05CE05
.long 0xBF850193
.long 0x80605A60
.long 0x82615B61
.long 0xD0C6005C, 0x00000A80
.long 0xD100003F, 0x01727D29
.long 0xE050D000, 0x8018703F
.long 0xBF8C0F7E
.long 0x025EF12F
.long 0x81858105
.long 0xBF05CE05
.long 0xBF850186
.long 0x80605A60
.long 0x82615B61
.long 0xD0C6005C, 0x00000A80
.long 0xD100003F, 0x01727D29
.long 0xE050D000, 0x8018783F
.long 0xBF8C0F7E
.long 0x025F012F
.long 0x81858105
.long 0xBF05CE05
.long 0xBF850179
.long 0x80605A60
.long 0x82615B61
.long 0xD0C6005C, 0x00000A80
.long 0xD100003F, 0x01727D29
.long 0xE050D000, 0x8018803F
.long 0xBF8C0F7E
.long 0x025F112F
.long 0x81858105
.long 0xBF05CE05
.long 0xBF85016C
.long 0x80605A60
.long 0x82615B61
.long 0xD0C6005C, 0x00000A80
.long 0xD100003F, 0x01727D29
.long 0xE050D000, 0x8018883F
.long 0xBF8C0F7E
.long 0x025F212F
.long 0x81858105
.long 0xBF05CE05
.long 0xBF85015F
.long 0x80605A60
.long 0x82615B61
.long 0xD0C6005C, 0x00000A80
.long 0xD100003F, 0x01727D29
.long 0xE050D000, 0x8018903F
.long 0xBF8C0F7E
.long 0x025F312F
.long 0x81858105
.long 0xBF05CE05
.long 0xBF850152
.long 0x80605A60
.long 0x82615B61
.long 0xD0C6005C, 0x00000A80
.long 0xD100003F, 0x01727D29
.long 0xE050D000, 0x8018983F
.long 0xBF8C0F7E
.long 0x025F412F
.long 0x81858105
.long 0xBF05CE05
.long 0xBF850145
.long 0x80605A60
.long 0x82615B61
.long 0xD0C6005C, 0x00000A80
.long 0xD100003F, 0x01727D29
.long 0xE050D000, 0x8018A03F
.long 0xBF8C0F7E
.long 0x025F512F
.long 0x81858105
.long 0xBF05CE05
.long 0xBF850138
.long 0x80605A60
.long 0x82615B61
.long 0xD0C6005C, 0x00000A80
.long 0xD100003F, 0x01727D29
.long 0xE050D000, 0x8018A83F
.long 0xBF8C0F7E
.long 0x025F612F
.long 0x81858105
.long 0xBF05CE05
.long 0xBF85012B
.long 0x80605A60
.long 0x82615B61
.long 0xD0C6005C, 0x00000A80
.long 0xD100003F, 0x01727D29
.long 0xE050D000, 0x8018B03F
.long 0xBF8C0F7E
.long 0x025F712F
.long 0x81858105
.long 0xBF05CE05
.long 0xBF85011E
.long 0x80605A60
.long 0x82615B61
.long 0xD0C6005C, 0x00000A80
.long 0xD100003F, 0x01727D29
.long 0xE050D000, 0x8018B83F
.long 0xBF8C0F7E
.long 0x025F812F
.long 0x81858105
.long 0xBF05CE05
.long 0xBF850111
.long 0x80605A60
.long 0x82615B61
.long 0xD0C6005C, 0x00000A80
.long 0xD100003F, 0x01727D29
.long 0xE050D000, 0x8018C03F
.long 0xBF8C0F7E
.long 0x025F912F
.long 0x81858105
.long 0xBF05CE05
.long 0xBF850104
.long 0x80605A60
.long 0x82615B61
.long 0xD0C6005C, 0x00000A80
.long 0xD100003F, 0x01727D29
.long 0xE050D000, 0x8018C83F
.long 0xBF8C0F7E
.long 0x025FA12F
.long 0x81858105
.long 0xBF05CE05
.long 0xBF8500F7
.long 0x80605A60
.long 0x82615B61
.long 0xD0C6005C, 0x00000A80
.long 0xD100003F, 0x01727D29
.long 0xE050D000, 0x8018D03F
.long 0xBF8C0F7E
.long 0x025FB12F
.long 0x81858105
.long 0xBF05CE05
.long 0xBF8500EA
.long 0x80605A60
.long 0x82615B61
.long 0xD0C6005C, 0x00000A80
.long 0xD100003F, 0x01727D29
.long 0xE050D000, 0x8018D83F
.long 0xBF02CE05
.long 0xBF85FF3B
.long 0xBF8C0F7D
.long 0x025ED12F
.long 0xBF8C0F7C
.long 0x025EE12F
.long 0xBF8C0F7B
	;; [unrolled: 1-line block ×221, first 2 shown]
.long 0x7E7C02FF, 0x80000000
.long 0xBEE00016
.long 0xBEE10017
	;; [unrolled: 1-line block ×4, first 2 shown]
.long 0xE050D000, 0x80183630
.long 0xBE850032
.long 0x81858105
	;; [unrolled: 1-line block ×6, first 2 shown]
.long 0xE050D000, 0x80186830
.long 0x81858105
.long 0x80605A60
.long 0x82615B61
.long 0xBF008005
.long 0xBF8501FF
.long 0xE050D000, 0x80187030
.long 0x81858105
.long 0x80605A60
.long 0x82615B61
.long 0xBF008005
.long 0xBF8501F3
	;; [unrolled: 6-line block ×15, first 2 shown]
.long 0x80605A60
.long 0x82615B61
.long 0xD0C6005C, 0x00000A80
.long 0xD100003F, 0x01727D30
.long 0xE050D000, 0x8018683F
.long 0xBF8C0F7E
.long 0x026CE136
.long 0x81858105
.long 0xBF05CE05
.long 0xBF850193
.long 0x80605A60
.long 0x82615B61
.long 0xD0C6005C, 0x00000A80
.long 0xD100003F, 0x01727D30
.long 0xE050D000, 0x8018703F
.long 0xBF8C0F7E
.long 0x026CF136
.long 0x81858105
.long 0xBF05CE05
.long 0xBF850186
	;; [unrolled: 10-line block ×15, first 2 shown]
.long 0x026CE136
.long 0xBF8C0F7B
.long 0x026CF136
.long 0xBF8C0F7A
.long 0x026D0136
.long 0xBF8C0F79
.long 0x026D1136
.long 0xBF8C0F78
.long 0x026D2136
.long 0xBF8C0F77
.long 0x026D3136
.long 0xBF8C0F76
.long 0x026D4136
.long 0xBF8C0F75
.long 0x026D5136
.long 0xBF8C0F74
.long 0x026D6136
.long 0xBF8C0F73
.long 0x026D7136
.long 0xBF8C0F72
.long 0x026D8136
.long 0xBF8C0F71
.long 0x026D9136
.long 0xBF8C0F70
.long 0x026DA136
.long 0xBF8200C3
.long 0xBF8C0F7C
.long 0x026CD136
.long 0xBF8C0F7B
.long 0x026CE136
.long 0xBF8C0F7A
.long 0x026CF136
.long 0xBF8C0F79
.long 0x026D0136
.long 0xBF8C0F78
.long 0x026D1136
.long 0xBF8C0F77
.long 0x026D2136
.long 0xBF8C0F76
.long 0x026D3136
.long 0xBF8C0F75
.long 0x026D4136
.long 0xBF8C0F74
.long 0x026D5136
.long 0xBF8C0F73
.long 0x026D6136
.long 0xBF8C0F72
.long 0x026D7136
.long 0xBF8C0F71
.long 0x026D8136
.long 0xBF8C0F70
.long 0x026D9136
.long 0xBF8200A8
.long 0xBF8C0F7B
.long 0x026CD136
.long 0xBF8C0F7A
.long 0x026CE136
.long 0xBF8C0F79
.long 0x026CF136
.long 0xBF8C0F78
.long 0x026D0136
.long 0xBF8C0F77
.long 0x026D1136
.long 0xBF8C0F76
.long 0x026D2136
.long 0xBF8C0F75
.long 0x026D3136
.long 0xBF8C0F74
.long 0x026D4136
.long 0xBF8C0F73
.long 0x026D5136
.long 0xBF8C0F72
.long 0x026D6136
.long 0xBF8C0F71
.long 0x026D7136
.long 0xBF8C0F70
.long 0x026D8136
.long 0xBF82008F
.long 0xBF8C0F7A
.long 0x026CD136
.long 0xBF8C0F79
.long 0x026CE136
.long 0xBF8C0F78
.long 0x026CF136
.long 0xBF8C0F77
.long 0x026D0136
.long 0xBF8C0F76
.long 0x026D1136
.long 0xBF8C0F75
.long 0x026D2136
.long 0xBF8C0F74
.long 0x026D3136
.long 0xBF8C0F73
.long 0x026D4136
.long 0xBF8C0F72
.long 0x026D5136
.long 0xBF8C0F71
.long 0x026D6136
.long 0xBF8C0F70
.long 0x026D7136
.long 0xBF820078
.long 0xBF8C0F79
.long 0x026CD136
.long 0xBF8C0F78
.long 0x026CE136
.long 0xBF8C0F77
.long 0x026CF136
.long 0xBF8C0F76
.long 0x026D0136
.long 0xBF8C0F75
.long 0x026D1136
.long 0xBF8C0F74
.long 0x026D2136
.long 0xBF8C0F73
.long 0x026D3136
.long 0xBF8C0F72
.long 0x026D4136
.long 0xBF8C0F71
.long 0x026D5136
.long 0xBF8C0F70
.long 0x026D6136
.long 0xBF820063
.long 0xBF8C0F78
.long 0x026CD136
.long 0xBF8C0F77
.long 0x026CE136
.long 0xBF8C0F76
.long 0x026CF136
.long 0xBF8C0F75
.long 0x026D0136
.long 0xBF8C0F74
.long 0x026D1136
.long 0xBF8C0F73
.long 0x026D2136
.long 0xBF8C0F72
.long 0x026D3136
.long 0xBF8C0F71
.long 0x026D4136
.long 0xBF8C0F70
.long 0x026D5136
.long 0xBF820050
.long 0xBF8C0F77
.long 0x026CD136
.long 0xBF8C0F76
.long 0x026CE136
.long 0xBF8C0F75
.long 0x026CF136
.long 0xBF8C0F74
.long 0x026D0136
.long 0xBF8C0F73
.long 0x026D1136
.long 0xBF8C0F72
.long 0x026D2136
.long 0xBF8C0F71
.long 0x026D3136
.long 0xBF8C0F70
.long 0x026D4136
.long 0xBF82003F
.long 0xBF8C0F76
.long 0x026CD136
.long 0xBF8C0F75
.long 0x026CE136
.long 0xBF8C0F74
.long 0x026CF136
.long 0xBF8C0F73
.long 0x026D0136
.long 0xBF8C0F72
.long 0x026D1136
.long 0xBF8C0F71
.long 0x026D2136
.long 0xBF8C0F70
.long 0x026D3136
.long 0xBF820030
.long 0xBF8C0F75
.long 0x026CD136
.long 0xBF8C0F74
.long 0x026CE136
.long 0xBF8C0F73
.long 0x026CF136
.long 0xBF8C0F72
.long 0x026D0136
.long 0xBF8C0F71
.long 0x026D1136
.long 0xBF8C0F70
.long 0x026D2136
.long 0xBF820023
.long 0xBF8C0F74
.long 0x026CD136
.long 0xBF8C0F73
.long 0x026CE136
.long 0xBF8C0F72
.long 0x026CF136
.long 0xBF8C0F71
.long 0x026D0136
.long 0xBF8C0F70
.long 0x026D1136
.long 0xBF820018
.long 0xBF8C0F73
.long 0x026CD136
.long 0xBF8C0F72
.long 0x026CE136
.long 0xBF8C0F71
.long 0x026CF136
.long 0xBF8C0F70
.long 0x026D0136
.long 0xBF82000F
.long 0xBF8C0F72
.long 0x026CD136
.long 0xBF8C0F71
.long 0x026CE136
.long 0xBF8C0F70
.long 0x026CF136
.long 0xBF820008
.long 0xBF8C0F71
.long 0x026CD136
.long 0xBF8C0F70
.long 0x026CE136
.long 0xBF820003
.long 0xBF8C0F70
.long 0x026CD136
.long 0xBF820000
.long 0x7E7C02FF, 0x80000000
.long 0xBEE00016
.long 0xBEE10017
	;; [unrolled: 1-line block ×4, first 2 shown]
.long 0xE050D000, 0x80183D37
.long 0xBE850032
.long 0x81858105
	;; [unrolled: 1-line block ×6, first 2 shown]
.long 0xE050D000, 0x80186837
.long 0x81858105
.long 0x80605A60
.long 0x82615B61
.long 0xBF008005
.long 0xBF8501FF
.long 0xE050D000, 0x80187037
.long 0x81858105
.long 0x80605A60
.long 0x82615B61
.long 0xBF008005
.long 0xBF8501F3
	;; [unrolled: 6-line block ×15, first 2 shown]
.long 0x80605A60
.long 0x82615B61
.long 0xD0C6005C, 0x00000A80
.long 0xD100003F, 0x01727D37
.long 0xE050D000, 0x8018683F
.long 0xBF8C0F7E
.long 0x027AE13D
.long 0x81858105
.long 0xBF05CE05
.long 0xBF850193
.long 0x80605A60
.long 0x82615B61
.long 0xD0C6005C, 0x00000A80
.long 0xD100003F, 0x01727D37
.long 0xE050D000, 0x8018703F
.long 0xBF8C0F7E
.long 0x027AF13D
.long 0x81858105
.long 0xBF05CE05
.long 0xBF850186
	;; [unrolled: 10-line block ×15, first 2 shown]
.long 0x027AE13D
.long 0xBF8C0F7B
	;; [unrolled: 1-line block ×230, first 2 shown]
.long 0xD0CC0038, 0x0001004A
.long 0xD100000B, 0x00E216F2
.long 0x0A18190B
.long 0x0218190A
.long 0x0A08183E
.long 0xD046006A, 0x0001010C
.long 0x00181904
.long 0x7E18150C
.long 0xE068D000, 0x80140C07
.long 0xBF800000
.long 0xD0CC0038, 0x0001004A
.long 0xD1000012, 0x00E224F2
.long 0x0A262712
.long 0x02262711
.long 0x0A08263E
.long 0xD046006A, 0x00010113
.long 0x00262704
.long 0x7E261513
.long 0xE068D000, 0x8014130E
.long 0xBF800000
	;; [unrolled: 10-line block ×8, first 2 shown]
.long 0xBF800000
.long 0xBED41C00
.long 0x815684FF, 0x000127CC
.long 0x80545654
.long 0x82558055
	;; [unrolled: 1-line block ×3, first 2 shown]
.long 0x7E7C02FF, 0x80000000
.long 0xD0C90054, 0x00003900
	;; [unrolled: 1-line block ×3, first 2 shown]
.long 0x86D85854
.long 0x925402FF, 0x00000080
.long 0xD1350008, 0x0000A900
.long 0x24101082
.long 0xD1000008, 0x0162113E
.long 0xBF8CC07F
.long 0xBF8A0000
.long 0xD86C0000, 0x0A000008
.long 0x24120082
.long 0xE0501000, 0x80120B09
.long 0xD1FE0006, 0x020A0103
.long 0xD1000006, 0x01620D3E
.long 0xD1FE0007, 0x02060103
.long 0xD1000007, 0x01620F3E
.long 0xD1196A04, 0x00010300
.long 0xD0C90054, 0x00003904
.long 0xD0C90058, 0x00003B01
.long 0x86D85854
.long 0x925402FF, 0x00000080
.long 0xD135000F, 0x0000A904
.long 0x241E1E82
.long 0xD100000F, 0x01621F3E
.long 0xD86C0000, 0x1100000F
.long 0x24200882
.long 0xE0501000, 0x80121210
.long 0xD1FE000D, 0x020A0903
.long 0xD100000D, 0x01621B3E
.long 0xD1FE000E, 0x02060903
.long 0xD100000E, 0x01621D3E
.long 0xD1196A04, 0x00010500
.long 0xD0C90054, 0x00003904
.long 0xD0C90058, 0x00003B01
.long 0x86D85854
.long 0x925402FF, 0x00000080
.long 0xD1350016, 0x0000A904
.long 0x242C2C82
.long 0xD1000016, 0x01622D3E
	;; [unrolled: 15-line block ×7, first 2 shown]
.long 0xD86C0000, 0x3B000039
.long 0x24740882
.long 0xE0501000, 0x80123C3A
.long 0xD1FE0037, 0x020A0903
	;; [unrolled: 1-line block ×13, first 2 shown]
.long 0xBF800001
.long 0xE070D000, 0x80030C06
.long 0xE070D000, 0x8003130D
	;; [unrolled: 1-line block ×8, first 2 shown]
.long 0xBF800000
.long 0x92421415
	;; [unrolled: 1-line block ×16, first 2 shown]
.long 0xC2330CCC, 0x00000000
.long 0x965F811C
.long 0x925E811C
	;; [unrolled: 1-line block ×15, first 2 shown]
.long 0x7E7C02FF, 0x80000000
.long 0xBEE00016
.long 0xBEE10017
.long 0xBEE2000E
.long 0xBEE3000F
.long 0xBF8CC07F
.long 0xBF068133
.long 0xBF84111B
.long 0xE050D000, 0x80180C06
.long 0xBE850032
.long 0x81858105
	;; [unrolled: 1-line block ×6, first 2 shown]
.long 0xE050D000, 0x80186806
.long 0x81858105
.long 0x80605A60
.long 0x82615B61
.long 0xBF008005
.long 0xBF8501FF
.long 0xE050D000, 0x80187006
.long 0x81858105
.long 0x80605A60
.long 0x82615B61
.long 0xBF008005
.long 0xBF8501F3
	;; [unrolled: 6-line block ×15, first 2 shown]
.long 0x80605A60
.long 0x82615B61
.long 0xD0C6005C, 0x00000A80
.long 0xD100003F, 0x01727D06
.long 0xE050D000, 0x8018683F
.long 0xBF8C0F7E
.long 0x0218E10C
.long 0x81858105
.long 0xBF05CE05
.long 0xBF850193
.long 0x80605A60
.long 0x82615B61
.long 0xD0C6005C, 0x00000A80
.long 0xD100003F, 0x01727D06
.long 0xE050D000, 0x8018703F
.long 0xBF8C0F7E
.long 0x0218F10C
.long 0x81858105
.long 0xBF05CE05
.long 0xBF850186
.long 0x80605A60
.long 0x82615B61
.long 0xD0C6005C, 0x00000A80
.long 0xD100003F, 0x01727D06
.long 0xE050D000, 0x8018783F
.long 0xBF8C0F7E
.long 0x0219010C
.long 0x81858105
.long 0xBF05CE05
.long 0xBF850179
.long 0x80605A60
.long 0x82615B61
.long 0xD0C6005C, 0x00000A80
.long 0xD100003F, 0x01727D06
.long 0xE050D000, 0x8018803F
.long 0xBF8C0F7E
.long 0x0219110C
.long 0x81858105
.long 0xBF05CE05
.long 0xBF85016C
.long 0x80605A60
.long 0x82615B61
.long 0xD0C6005C, 0x00000A80
.long 0xD100003F, 0x01727D06
.long 0xE050D000, 0x8018883F
.long 0xBF8C0F7E
.long 0x0219210C
.long 0x81858105
.long 0xBF05CE05
.long 0xBF85015F
.long 0x80605A60
.long 0x82615B61
.long 0xD0C6005C, 0x00000A80
.long 0xD100003F, 0x01727D06
.long 0xE050D000, 0x8018903F
.long 0xBF8C0F7E
.long 0x0219310C
.long 0x81858105
.long 0xBF05CE05
.long 0xBF850152
.long 0x80605A60
.long 0x82615B61
.long 0xD0C6005C, 0x00000A80
.long 0xD100003F, 0x01727D06
.long 0xE050D000, 0x8018983F
.long 0xBF8C0F7E
.long 0x0219410C
.long 0x81858105
.long 0xBF05CE05
.long 0xBF850145
.long 0x80605A60
.long 0x82615B61
.long 0xD0C6005C, 0x00000A80
.long 0xD100003F, 0x01727D06
.long 0xE050D000, 0x8018A03F
.long 0xBF8C0F7E
.long 0x0219510C
.long 0x81858105
.long 0xBF05CE05
.long 0xBF850138
.long 0x80605A60
.long 0x82615B61
.long 0xD0C6005C, 0x00000A80
.long 0xD100003F, 0x01727D06
.long 0xE050D000, 0x8018A83F
.long 0xBF8C0F7E
.long 0x0219610C
.long 0x81858105
.long 0xBF05CE05
.long 0xBF85012B
.long 0x80605A60
.long 0x82615B61
.long 0xD0C6005C, 0x00000A80
.long 0xD100003F, 0x01727D06
.long 0xE050D000, 0x8018B03F
.long 0xBF8C0F7E
.long 0x0219710C
.long 0x81858105
.long 0xBF05CE05
.long 0xBF85011E
.long 0x80605A60
.long 0x82615B61
.long 0xD0C6005C, 0x00000A80
.long 0xD100003F, 0x01727D06
.long 0xE050D000, 0x8018B83F
.long 0xBF8C0F7E
.long 0x0219810C
.long 0x81858105
.long 0xBF05CE05
.long 0xBF850111
.long 0x80605A60
.long 0x82615B61
.long 0xD0C6005C, 0x00000A80
.long 0xD100003F, 0x01727D06
.long 0xE050D000, 0x8018C03F
.long 0xBF8C0F7E
.long 0x0219910C
.long 0x81858105
.long 0xBF05CE05
.long 0xBF850104
.long 0x80605A60
.long 0x82615B61
.long 0xD0C6005C, 0x00000A80
.long 0xD100003F, 0x01727D06
.long 0xE050D000, 0x8018C83F
.long 0xBF8C0F7E
.long 0x0219A10C
.long 0x81858105
.long 0xBF05CE05
.long 0xBF8500F7
.long 0x80605A60
.long 0x82615B61
.long 0xD0C6005C, 0x00000A80
.long 0xD100003F, 0x01727D06
.long 0xE050D000, 0x8018D03F
.long 0xBF8C0F7E
.long 0x0219B10C
.long 0x81858105
.long 0xBF05CE05
.long 0xBF8500EA
.long 0x80605A60
.long 0x82615B61
.long 0xD0C6005C, 0x00000A80
.long 0xD100003F, 0x01727D06
.long 0xE050D000, 0x8018D83F
.long 0xBF02CE05
.long 0xBF85FF3B
.long 0xBF8C0F7D
.long 0x0218D10C
.long 0xBF8C0F7C
.long 0x0218E10C
.long 0xBF8C0F7B
	;; [unrolled: 1-line block ×221, first 2 shown]
.long 0x7E7C02FF, 0x80000000
.long 0xBEE00016
.long 0xBEE10017
.long 0xBEE2000E
.long 0xBEE3000F
.long 0xE050D000, 0x8018130D
.long 0xBE850032
.long 0x81858105
	;; [unrolled: 1-line block ×6, first 2 shown]
.long 0xE050D000, 0x8018680D
.long 0x81858105
.long 0x80605A60
.long 0x82615B61
.long 0xBF008005
.long 0xBF8501FF
.long 0xE050D000, 0x8018700D
.long 0x81858105
.long 0x80605A60
.long 0x82615B61
.long 0xBF008005
.long 0xBF8501F3
	;; [unrolled: 6-line block ×15, first 2 shown]
.long 0x80605A60
.long 0x82615B61
.long 0xD0C6005C, 0x00000A80
.long 0xD100003F, 0x01727D0D
.long 0xE050D000, 0x8018683F
.long 0xBF8C0F7E
.long 0x0226E113
.long 0x81858105
.long 0xBF05CE05
.long 0xBF850193
.long 0x80605A60
.long 0x82615B61
.long 0xD0C6005C, 0x00000A80
.long 0xD100003F, 0x01727D0D
.long 0xE050D000, 0x8018703F
.long 0xBF8C0F7E
.long 0x0226F113
.long 0x81858105
.long 0xBF05CE05
.long 0xBF850186
	;; [unrolled: 10-line block ×15, first 2 shown]
.long 0x0226E113
.long 0xBF8C0F7B
	;; [unrolled: 1-line block ×221, first 2 shown]
.long 0x7E7C02FF, 0x80000000
.long 0xBEE00016
.long 0xBEE10017
	;; [unrolled: 1-line block ×4, first 2 shown]
.long 0xE050D000, 0x80181A14
.long 0xBE850032
.long 0x81858105
	;; [unrolled: 1-line block ×6, first 2 shown]
.long 0xE050D000, 0x80186814
.long 0x81858105
.long 0x80605A60
.long 0x82615B61
.long 0xBF008005
.long 0xBF8501FF
.long 0xE050D000, 0x80187014
.long 0x81858105
.long 0x80605A60
.long 0x82615B61
.long 0xBF008005
.long 0xBF8501F3
	;; [unrolled: 6-line block ×15, first 2 shown]
.long 0x80605A60
.long 0x82615B61
.long 0xD0C6005C, 0x00000A80
.long 0xD100003F, 0x01727D14
.long 0xE050D000, 0x8018683F
.long 0xBF8C0F7E
.long 0x0234E11A
.long 0x81858105
.long 0xBF05CE05
.long 0xBF850193
.long 0x80605A60
.long 0x82615B61
.long 0xD0C6005C, 0x00000A80
.long 0xD100003F, 0x01727D14
.long 0xE050D000, 0x8018703F
.long 0xBF8C0F7E
.long 0x0234F11A
.long 0x81858105
.long 0xBF05CE05
.long 0xBF850186
	;; [unrolled: 10-line block ×15, first 2 shown]
.long 0x0234E11A
.long 0xBF8C0F7B
	;; [unrolled: 1-line block ×221, first 2 shown]
.long 0x7E7C02FF, 0x80000000
.long 0xBEE00016
.long 0xBEE10017
	;; [unrolled: 1-line block ×4, first 2 shown]
.long 0xE050D000, 0x8018211B
.long 0xBE850032
.long 0x81858105
.long 0x80605A60
.long 0x82615B61
.long 0xBF008005
.long 0xBF850209
.long 0xE050D000, 0x8018681B
.long 0x81858105
.long 0x80605A60
.long 0x82615B61
.long 0xBF008005
.long 0xBF8501FF
.long 0xE050D000, 0x8018701B
.long 0x81858105
.long 0x80605A60
.long 0x82615B61
.long 0xBF008005
.long 0xBF8501F3
	;; [unrolled: 6-line block ×15, first 2 shown]
.long 0x80605A60
.long 0x82615B61
.long 0xD0C6005C, 0x00000A80
.long 0xD100003F, 0x01727D1B
.long 0xE050D000, 0x8018683F
.long 0xBF8C0F7E
.long 0x0242E121
.long 0x81858105
.long 0xBF05CE05
.long 0xBF850193
.long 0x80605A60
.long 0x82615B61
.long 0xD0C6005C, 0x00000A80
.long 0xD100003F, 0x01727D1B
.long 0xE050D000, 0x8018703F
.long 0xBF8C0F7E
.long 0x0242F121
.long 0x81858105
.long 0xBF05CE05
.long 0xBF850186
	;; [unrolled: 10-line block ×15, first 2 shown]
.long 0x0242E121
.long 0xBF8C0F7B
	;; [unrolled: 1-line block ×221, first 2 shown]
.long 0x7E7C02FF, 0x80000000
.long 0xBEE00016
.long 0xBEE10017
	;; [unrolled: 1-line block ×4, first 2 shown]
.long 0xE050D000, 0x80182822
.long 0xBE850032
.long 0x81858105
	;; [unrolled: 1-line block ×6, first 2 shown]
.long 0xE050D000, 0x80186822
.long 0x81858105
.long 0x80605A60
.long 0x82615B61
.long 0xBF008005
.long 0xBF8501FF
.long 0xE050D000, 0x80187022
.long 0x81858105
.long 0x80605A60
.long 0x82615B61
.long 0xBF008005
.long 0xBF8501F3
	;; [unrolled: 6-line block ×15, first 2 shown]
.long 0x80605A60
.long 0x82615B61
.long 0xD0C6005C, 0x00000A80
.long 0xD100003F, 0x01727D22
.long 0xE050D000, 0x8018683F
.long 0xBF8C0F7E
.long 0x0250E128
.long 0x81858105
.long 0xBF05CE05
.long 0xBF850193
.long 0x80605A60
.long 0x82615B61
.long 0xD0C6005C, 0x00000A80
.long 0xD100003F, 0x01727D22
.long 0xE050D000, 0x8018703F
.long 0xBF8C0F7E
.long 0x0250F128
.long 0x81858105
.long 0xBF05CE05
.long 0xBF850186
	;; [unrolled: 10-line block ×15, first 2 shown]
.long 0x0250E128
.long 0xBF8C0F7B
	;; [unrolled: 1-line block ×221, first 2 shown]
.long 0x7E7C02FF, 0x80000000
.long 0xBEE00016
.long 0xBEE10017
	;; [unrolled: 1-line block ×4, first 2 shown]
.long 0xE050D000, 0x80182F29
.long 0xBE850032
.long 0x81858105
	;; [unrolled: 1-line block ×6, first 2 shown]
.long 0xE050D000, 0x80186829
.long 0x81858105
.long 0x80605A60
.long 0x82615B61
.long 0xBF008005
.long 0xBF8501FF
.long 0xE050D000, 0x80187029
.long 0x81858105
.long 0x80605A60
.long 0x82615B61
.long 0xBF008005
.long 0xBF8501F3
	;; [unrolled: 6-line block ×15, first 2 shown]
.long 0x80605A60
.long 0x82615B61
.long 0xD0C6005C, 0x00000A80
.long 0xD100003F, 0x01727D29
.long 0xE050D000, 0x8018683F
.long 0xBF8C0F7E
.long 0x025EE12F
.long 0x81858105
.long 0xBF05CE05
.long 0xBF850193
.long 0x80605A60
.long 0x82615B61
.long 0xD0C6005C, 0x00000A80
.long 0xD100003F, 0x01727D29
.long 0xE050D000, 0x8018703F
.long 0xBF8C0F7E
.long 0x025EF12F
.long 0x81858105
.long 0xBF05CE05
.long 0xBF850186
	;; [unrolled: 10-line block ×15, first 2 shown]
.long 0x025EE12F
.long 0xBF8C0F7B
.long 0x025EF12F
.long 0xBF8C0F7A
.long 0x025F012F
.long 0xBF8C0F79
.long 0x025F112F
.long 0xBF8C0F78
.long 0x025F212F
.long 0xBF8C0F77
.long 0x025F312F
.long 0xBF8C0F76
.long 0x025F412F
.long 0xBF8C0F75
.long 0x025F512F
.long 0xBF8C0F74
.long 0x025F612F
.long 0xBF8C0F73
.long 0x025F712F
.long 0xBF8C0F72
.long 0x025F812F
.long 0xBF8C0F71
.long 0x025F912F
.long 0xBF8C0F70
.long 0x025FA12F
.long 0xBF8200C3
.long 0xBF8C0F7C
.long 0x025ED12F
.long 0xBF8C0F7B
.long 0x025EE12F
.long 0xBF8C0F7A
.long 0x025EF12F
.long 0xBF8C0F79
.long 0x025F012F
.long 0xBF8C0F78
.long 0x025F112F
.long 0xBF8C0F77
.long 0x025F212F
.long 0xBF8C0F76
.long 0x025F312F
.long 0xBF8C0F75
.long 0x025F412F
.long 0xBF8C0F74
.long 0x025F512F
.long 0xBF8C0F73
.long 0x025F612F
.long 0xBF8C0F72
.long 0x025F712F
.long 0xBF8C0F71
.long 0x025F812F
.long 0xBF8C0F70
.long 0x025F912F
.long 0xBF8200A8
.long 0xBF8C0F7B
.long 0x025ED12F
.long 0xBF8C0F7A
.long 0x025EE12F
.long 0xBF8C0F79
.long 0x025EF12F
.long 0xBF8C0F78
.long 0x025F012F
.long 0xBF8C0F77
.long 0x025F112F
.long 0xBF8C0F76
.long 0x025F212F
.long 0xBF8C0F75
.long 0x025F312F
.long 0xBF8C0F74
.long 0x025F412F
.long 0xBF8C0F73
.long 0x025F512F
.long 0xBF8C0F72
.long 0x025F612F
.long 0xBF8C0F71
.long 0x025F712F
.long 0xBF8C0F70
.long 0x025F812F
.long 0xBF82008F
.long 0xBF8C0F7A
.long 0x025ED12F
.long 0xBF8C0F79
.long 0x025EE12F
.long 0xBF8C0F78
.long 0x025EF12F
.long 0xBF8C0F77
.long 0x025F012F
.long 0xBF8C0F76
.long 0x025F112F
.long 0xBF8C0F75
.long 0x025F212F
.long 0xBF8C0F74
.long 0x025F312F
.long 0xBF8C0F73
.long 0x025F412F
.long 0xBF8C0F72
.long 0x025F512F
.long 0xBF8C0F71
.long 0x025F612F
.long 0xBF8C0F70
.long 0x025F712F
.long 0xBF820078
.long 0xBF8C0F79
.long 0x025ED12F
.long 0xBF8C0F78
.long 0x025EE12F
.long 0xBF8C0F77
.long 0x025EF12F
.long 0xBF8C0F76
.long 0x025F012F
.long 0xBF8C0F75
.long 0x025F112F
.long 0xBF8C0F74
.long 0x025F212F
.long 0xBF8C0F73
.long 0x025F312F
.long 0xBF8C0F72
.long 0x025F412F
.long 0xBF8C0F71
.long 0x025F512F
.long 0xBF8C0F70
.long 0x025F612F
.long 0xBF820063
.long 0xBF8C0F78
.long 0x025ED12F
.long 0xBF8C0F77
.long 0x025EE12F
.long 0xBF8C0F76
.long 0x025EF12F
.long 0xBF8C0F75
.long 0x025F012F
.long 0xBF8C0F74
.long 0x025F112F
.long 0xBF8C0F73
.long 0x025F212F
.long 0xBF8C0F72
.long 0x025F312F
.long 0xBF8C0F71
.long 0x025F412F
.long 0xBF8C0F70
.long 0x025F512F
.long 0xBF820050
.long 0xBF8C0F77
.long 0x025ED12F
.long 0xBF8C0F76
.long 0x025EE12F
.long 0xBF8C0F75
.long 0x025EF12F
.long 0xBF8C0F74
.long 0x025F012F
.long 0xBF8C0F73
.long 0x025F112F
.long 0xBF8C0F72
.long 0x025F212F
.long 0xBF8C0F71
.long 0x025F312F
.long 0xBF8C0F70
.long 0x025F412F
.long 0xBF82003F
.long 0xBF8C0F76
.long 0x025ED12F
.long 0xBF8C0F75
.long 0x025EE12F
.long 0xBF8C0F74
.long 0x025EF12F
.long 0xBF8C0F73
.long 0x025F012F
.long 0xBF8C0F72
.long 0x025F112F
.long 0xBF8C0F71
.long 0x025F212F
.long 0xBF8C0F70
.long 0x025F312F
.long 0xBF820030
.long 0xBF8C0F75
.long 0x025ED12F
.long 0xBF8C0F74
.long 0x025EE12F
.long 0xBF8C0F73
.long 0x025EF12F
.long 0xBF8C0F72
.long 0x025F012F
.long 0xBF8C0F71
.long 0x025F112F
.long 0xBF8C0F70
.long 0x025F212F
.long 0xBF820023
.long 0xBF8C0F74
.long 0x025ED12F
.long 0xBF8C0F73
.long 0x025EE12F
.long 0xBF8C0F72
.long 0x025EF12F
.long 0xBF8C0F71
.long 0x025F012F
.long 0xBF8C0F70
.long 0x025F112F
.long 0xBF820018
.long 0xBF8C0F73
.long 0x025ED12F
.long 0xBF8C0F72
.long 0x025EE12F
.long 0xBF8C0F71
.long 0x025EF12F
.long 0xBF8C0F70
.long 0x025F012F
.long 0xBF82000F
.long 0xBF8C0F72
.long 0x025ED12F
.long 0xBF8C0F71
.long 0x025EE12F
.long 0xBF8C0F70
.long 0x025EF12F
.long 0xBF820008
.long 0xBF8C0F71
.long 0x025ED12F
.long 0xBF8C0F70
.long 0x025EE12F
.long 0xBF820003
.long 0xBF8C0F70
.long 0x025ED12F
.long 0xBF820000
.long 0x7E7C02FF, 0x80000000
.long 0xBEE00016
.long 0xBEE10017
	;; [unrolled: 1-line block ×4, first 2 shown]
.long 0xE050D000, 0x80183630
.long 0xBE850032
.long 0x81858105
	;; [unrolled: 1-line block ×6, first 2 shown]
.long 0xE050D000, 0x80186830
.long 0x81858105
.long 0x80605A60
.long 0x82615B61
.long 0xBF008005
.long 0xBF8501FF
.long 0xE050D000, 0x80187030
.long 0x81858105
.long 0x80605A60
.long 0x82615B61
.long 0xBF008005
.long 0xBF8501F3
	;; [unrolled: 6-line block ×15, first 2 shown]
.long 0x80605A60
.long 0x82615B61
.long 0xD0C6005C, 0x00000A80
.long 0xD100003F, 0x01727D30
.long 0xE050D000, 0x8018683F
.long 0xBF8C0F7E
.long 0x026CE136
.long 0x81858105
.long 0xBF05CE05
.long 0xBF850193
.long 0x80605A60
.long 0x82615B61
.long 0xD0C6005C, 0x00000A80
.long 0xD100003F, 0x01727D30
.long 0xE050D000, 0x8018703F
.long 0xBF8C0F7E
.long 0x026CF136
.long 0x81858105
.long 0xBF05CE05
.long 0xBF850186
	;; [unrolled: 10-line block ×15, first 2 shown]
.long 0x026CE136
.long 0xBF8C0F7B
	;; [unrolled: 1-line block ×221, first 2 shown]
.long 0x7E7C02FF, 0x80000000
.long 0xBEE00016
.long 0xBEE10017
	;; [unrolled: 1-line block ×4, first 2 shown]
.long 0xE050D000, 0x80183D37
.long 0xBE850032
.long 0x81858105
	;; [unrolled: 1-line block ×6, first 2 shown]
.long 0xE050D000, 0x80186837
.long 0x81858105
.long 0x80605A60
.long 0x82615B61
.long 0xBF008005
.long 0xBF8501FF
.long 0xE050D000, 0x80187037
.long 0x81858105
.long 0x80605A60
.long 0x82615B61
.long 0xBF008005
.long 0xBF8501F3
	;; [unrolled: 6-line block ×15, first 2 shown]
.long 0x80605A60
.long 0x82615B61
.long 0xD0C6005C, 0x00000A80
.long 0xD100003F, 0x01727D37
.long 0xE050D000, 0x8018683F
.long 0xBF8C0F7E
.long 0x027AE13D
.long 0x81858105
.long 0xBF05CE05
.long 0xBF850193
.long 0x80605A60
.long 0x82615B61
.long 0xD0C6005C, 0x00000A80
.long 0xD100003F, 0x01727D37
.long 0xE050D000, 0x8018703F
.long 0xBF8C0F7E
.long 0x027AF13D
.long 0x81858105
.long 0xBF05CE05
.long 0xBF850186
	;; [unrolled: 10-line block ×15, first 2 shown]
.long 0x027AE13D
.long 0xBF8C0F7B
	;; [unrolled: 1-line block ×230, first 2 shown]
.long 0xD0CC0038, 0x0001004A
.long 0xD100000B, 0x00E216F2
.long 0x0A18190B
.long 0x0218190A
.long 0xD10B000C, 0x0001010C
.long 0x7E18150C
.long 0xE068D000, 0x80140C07
.long 0xBF800000
.long 0xD0CC0038, 0x0001004A
.long 0xD1000012, 0x00E224F2
.long 0x0A262712
.long 0x02262711
.long 0xD10B0013, 0x00010113
.long 0x7E261513
.long 0xE068D000, 0x8014130E
.long 0xBF800000
	;; [unrolled: 8-line block ×8, first 2 shown]
.long 0xBF800000
.long 0xBF8237AD
.long 0x7E7C02FF, 0x80000000
.long 0xD0C90054, 0x00003900
	;; [unrolled: 1-line block ×3, first 2 shown]
.long 0x86D85854
.long 0x925402FF, 0x00000080
.long 0xD1350008, 0x0000A900
.long 0x24101082
.long 0xD1000008, 0x0162113E
.long 0xBF8CC07F
.long 0xBF8A0000
.long 0xD86C0000, 0x0A000008
.long 0x24120082
.long 0xE0501000, 0x80120B09
.long 0xD1FE0006, 0x020A0103
.long 0xD1000006, 0x01620D3E
.long 0xD1FE0007, 0x02060103
.long 0xD1000007, 0x01620F3E
.long 0xD1196A04, 0x00010300
.long 0xD0C90054, 0x00003904
.long 0xD0C90058, 0x00003B01
.long 0x86D85854
.long 0x925402FF, 0x00000080
.long 0xD135000F, 0x0000A904
.long 0x241E1E82
.long 0xD100000F, 0x01621F3E
.long 0xD86C0000, 0x1100000F
.long 0x24200882
.long 0xE0501000, 0x80121210
.long 0xD1FE000D, 0x020A0903
.long 0xD100000D, 0x01621B3E
.long 0xD1FE000E, 0x02060903
.long 0xD100000E, 0x01621D3E
.long 0xD1196A04, 0x00010500
.long 0xD0C90054, 0x00003904
.long 0xD0C90058, 0x00003B01
.long 0x86D85854
.long 0x925402FF, 0x00000080
.long 0xD1350016, 0x0000A904
.long 0x242C2C82
.long 0xD1000016, 0x01622D3E
	;; [unrolled: 15-line block ×7, first 2 shown]
.long 0xD86C0000, 0x3B000039
.long 0x24740882
.long 0xE0501000, 0x80123C3A
.long 0xD1FE0037, 0x020A0903
	;; [unrolled: 1-line block ×13, first 2 shown]
.long 0xBF800001
.long 0xE070D000, 0x80030C06
.long 0xE070D000, 0x8003130D
	;; [unrolled: 1-line block ×8, first 2 shown]
.long 0xBF800000
.long 0x92421415
	;; [unrolled: 1-line block ×16, first 2 shown]
.long 0xC2330CCC, 0x00000000
.long 0x965F811C
.long 0x925E811C
	;; [unrolled: 1-line block ×15, first 2 shown]
.long 0x7E7C02FF, 0x80000000
.long 0xBEE00016
.long 0xBEE10017
	;; [unrolled: 1-line block ×7, first 2 shown]
.long 0xE050D000, 0x80180C06
.long 0xBE850032
.long 0x81858105
	;; [unrolled: 1-line block ×6, first 2 shown]
.long 0xE050D000, 0x80186806
.long 0x81858105
.long 0x80605A60
.long 0x82615B61
.long 0xBF008005
.long 0xBF8501FF
.long 0xE050D000, 0x80187006
.long 0x81858105
.long 0x80605A60
.long 0x82615B61
.long 0xBF008005
.long 0xBF8501F3
	;; [unrolled: 6-line block ×15, first 2 shown]
.long 0x80605A60
.long 0x82615B61
.long 0xD0C6005C, 0x00000A80
.long 0xD100003F, 0x01727D06
.long 0xE050D000, 0x8018683F
.long 0xBF8C0F7E
.long 0x0218E10C
.long 0x81858105
.long 0xBF05CE05
.long 0xBF850193
.long 0x80605A60
.long 0x82615B61
.long 0xD0C6005C, 0x00000A80
.long 0xD100003F, 0x01727D06
.long 0xE050D000, 0x8018703F
.long 0xBF8C0F7E
.long 0x0218F10C
.long 0x81858105
.long 0xBF05CE05
.long 0xBF850186
	;; [unrolled: 10-line block ×15, first 2 shown]
.long 0x0218E10C
.long 0xBF8C0F7B
	;; [unrolled: 1-line block ×221, first 2 shown]
.long 0x7E7C02FF, 0x80000000
.long 0xBEE00016
.long 0xBEE10017
	;; [unrolled: 1-line block ×4, first 2 shown]
.long 0xE050D000, 0x8018130D
.long 0xBE850032
.long 0x81858105
.long 0x80605A60
.long 0x82615B61
.long 0xBF008005
.long 0xBF850209
.long 0xE050D000, 0x8018680D
.long 0x81858105
.long 0x80605A60
.long 0x82615B61
.long 0xBF008005
.long 0xBF8501FF
.long 0xE050D000, 0x8018700D
.long 0x81858105
.long 0x80605A60
.long 0x82615B61
.long 0xBF008005
.long 0xBF8501F3
	;; [unrolled: 6-line block ×15, first 2 shown]
.long 0x80605A60
.long 0x82615B61
.long 0xD0C6005C, 0x00000A80
.long 0xD100003F, 0x01727D0D
.long 0xE050D000, 0x8018683F
.long 0xBF8C0F7E
.long 0x0226E113
.long 0x81858105
.long 0xBF05CE05
.long 0xBF850193
.long 0x80605A60
.long 0x82615B61
.long 0xD0C6005C, 0x00000A80
.long 0xD100003F, 0x01727D0D
.long 0xE050D000, 0x8018703F
.long 0xBF8C0F7E
.long 0x0226F113
.long 0x81858105
.long 0xBF05CE05
.long 0xBF850186
	;; [unrolled: 10-line block ×15, first 2 shown]
.long 0x0226E113
.long 0xBF8C0F7B
	;; [unrolled: 1-line block ×221, first 2 shown]
.long 0x7E7C02FF, 0x80000000
.long 0xBEE00016
.long 0xBEE10017
	;; [unrolled: 1-line block ×4, first 2 shown]
.long 0xE050D000, 0x80181A14
.long 0xBE850032
.long 0x81858105
	;; [unrolled: 1-line block ×6, first 2 shown]
.long 0xE050D000, 0x80186814
.long 0x81858105
.long 0x80605A60
.long 0x82615B61
.long 0xBF008005
.long 0xBF8501FF
.long 0xE050D000, 0x80187014
.long 0x81858105
.long 0x80605A60
.long 0x82615B61
.long 0xBF008005
.long 0xBF8501F3
	;; [unrolled: 6-line block ×15, first 2 shown]
.long 0x80605A60
.long 0x82615B61
.long 0xD0C6005C, 0x00000A80
.long 0xD100003F, 0x01727D14
.long 0xE050D000, 0x8018683F
.long 0xBF8C0F7E
.long 0x0234E11A
.long 0x81858105
.long 0xBF05CE05
.long 0xBF850193
.long 0x80605A60
.long 0x82615B61
.long 0xD0C6005C, 0x00000A80
.long 0xD100003F, 0x01727D14
.long 0xE050D000, 0x8018703F
.long 0xBF8C0F7E
.long 0x0234F11A
.long 0x81858105
.long 0xBF05CE05
.long 0xBF850186
	;; [unrolled: 10-line block ×15, first 2 shown]
.long 0x0234E11A
.long 0xBF8C0F7B
.long 0x0234F11A
.long 0xBF8C0F7A
.long 0x0235011A
.long 0xBF8C0F79
.long 0x0235111A
.long 0xBF8C0F78
.long 0x0235211A
.long 0xBF8C0F77
.long 0x0235311A
.long 0xBF8C0F76
.long 0x0235411A
.long 0xBF8C0F75
.long 0x0235511A
.long 0xBF8C0F74
.long 0x0235611A
.long 0xBF8C0F73
.long 0x0235711A
.long 0xBF8C0F72
.long 0x0235811A
.long 0xBF8C0F71
.long 0x0235911A
.long 0xBF8C0F70
.long 0x0235A11A
.long 0xBF8200C3
.long 0xBF8C0F7C
.long 0x0234D11A
.long 0xBF8C0F7B
.long 0x0234E11A
.long 0xBF8C0F7A
.long 0x0234F11A
.long 0xBF8C0F79
.long 0x0235011A
.long 0xBF8C0F78
.long 0x0235111A
.long 0xBF8C0F77
.long 0x0235211A
.long 0xBF8C0F76
.long 0x0235311A
.long 0xBF8C0F75
.long 0x0235411A
.long 0xBF8C0F74
.long 0x0235511A
.long 0xBF8C0F73
.long 0x0235611A
.long 0xBF8C0F72
.long 0x0235711A
.long 0xBF8C0F71
.long 0x0235811A
.long 0xBF8C0F70
.long 0x0235911A
.long 0xBF8200A8
.long 0xBF8C0F7B
.long 0x0234D11A
.long 0xBF8C0F7A
.long 0x0234E11A
.long 0xBF8C0F79
.long 0x0234F11A
.long 0xBF8C0F78
.long 0x0235011A
.long 0xBF8C0F77
.long 0x0235111A
.long 0xBF8C0F76
.long 0x0235211A
.long 0xBF8C0F75
.long 0x0235311A
.long 0xBF8C0F74
.long 0x0235411A
.long 0xBF8C0F73
.long 0x0235511A
.long 0xBF8C0F72
.long 0x0235611A
.long 0xBF8C0F71
.long 0x0235711A
.long 0xBF8C0F70
.long 0x0235811A
.long 0xBF82008F
.long 0xBF8C0F7A
.long 0x0234D11A
.long 0xBF8C0F79
.long 0x0234E11A
.long 0xBF8C0F78
.long 0x0234F11A
.long 0xBF8C0F77
.long 0x0235011A
.long 0xBF8C0F76
.long 0x0235111A
.long 0xBF8C0F75
.long 0x0235211A
.long 0xBF8C0F74
.long 0x0235311A
.long 0xBF8C0F73
.long 0x0235411A
.long 0xBF8C0F72
.long 0x0235511A
.long 0xBF8C0F71
.long 0x0235611A
.long 0xBF8C0F70
.long 0x0235711A
.long 0xBF820078
.long 0xBF8C0F79
.long 0x0234D11A
.long 0xBF8C0F78
.long 0x0234E11A
.long 0xBF8C0F77
.long 0x0234F11A
.long 0xBF8C0F76
.long 0x0235011A
.long 0xBF8C0F75
.long 0x0235111A
.long 0xBF8C0F74
.long 0x0235211A
.long 0xBF8C0F73
.long 0x0235311A
.long 0xBF8C0F72
.long 0x0235411A
.long 0xBF8C0F71
.long 0x0235511A
.long 0xBF8C0F70
.long 0x0235611A
.long 0xBF820063
.long 0xBF8C0F78
.long 0x0234D11A
.long 0xBF8C0F77
.long 0x0234E11A
.long 0xBF8C0F76
.long 0x0234F11A
.long 0xBF8C0F75
.long 0x0235011A
.long 0xBF8C0F74
.long 0x0235111A
.long 0xBF8C0F73
.long 0x0235211A
.long 0xBF8C0F72
.long 0x0235311A
.long 0xBF8C0F71
.long 0x0235411A
.long 0xBF8C0F70
.long 0x0235511A
.long 0xBF820050
.long 0xBF8C0F77
.long 0x0234D11A
.long 0xBF8C0F76
.long 0x0234E11A
.long 0xBF8C0F75
.long 0x0234F11A
.long 0xBF8C0F74
.long 0x0235011A
.long 0xBF8C0F73
.long 0x0235111A
.long 0xBF8C0F72
.long 0x0235211A
.long 0xBF8C0F71
.long 0x0235311A
.long 0xBF8C0F70
.long 0x0235411A
.long 0xBF82003F
.long 0xBF8C0F76
.long 0x0234D11A
.long 0xBF8C0F75
.long 0x0234E11A
.long 0xBF8C0F74
.long 0x0234F11A
.long 0xBF8C0F73
.long 0x0235011A
.long 0xBF8C0F72
.long 0x0235111A
.long 0xBF8C0F71
.long 0x0235211A
.long 0xBF8C0F70
.long 0x0235311A
.long 0xBF820030
.long 0xBF8C0F75
.long 0x0234D11A
.long 0xBF8C0F74
.long 0x0234E11A
.long 0xBF8C0F73
.long 0x0234F11A
.long 0xBF8C0F72
.long 0x0235011A
.long 0xBF8C0F71
.long 0x0235111A
.long 0xBF8C0F70
.long 0x0235211A
.long 0xBF820023
.long 0xBF8C0F74
.long 0x0234D11A
.long 0xBF8C0F73
.long 0x0234E11A
.long 0xBF8C0F72
.long 0x0234F11A
.long 0xBF8C0F71
.long 0x0235011A
.long 0xBF8C0F70
.long 0x0235111A
.long 0xBF820018
.long 0xBF8C0F73
.long 0x0234D11A
.long 0xBF8C0F72
.long 0x0234E11A
.long 0xBF8C0F71
.long 0x0234F11A
.long 0xBF8C0F70
.long 0x0235011A
.long 0xBF82000F
.long 0xBF8C0F72
.long 0x0234D11A
.long 0xBF8C0F71
.long 0x0234E11A
.long 0xBF8C0F70
.long 0x0234F11A
.long 0xBF820008
.long 0xBF8C0F71
.long 0x0234D11A
.long 0xBF8C0F70
.long 0x0234E11A
.long 0xBF820003
.long 0xBF8C0F70
.long 0x0234D11A
.long 0xBF820000
.long 0x7E7C02FF, 0x80000000
.long 0xBEE00016
.long 0xBEE10017
	;; [unrolled: 1-line block ×4, first 2 shown]
.long 0xE050D000, 0x8018211B
.long 0xBE850032
.long 0x81858105
	;; [unrolled: 1-line block ×6, first 2 shown]
.long 0xE050D000, 0x8018681B
.long 0x81858105
.long 0x80605A60
.long 0x82615B61
.long 0xBF008005
.long 0xBF8501FF
.long 0xE050D000, 0x8018701B
.long 0x81858105
.long 0x80605A60
.long 0x82615B61
.long 0xBF008005
.long 0xBF8501F3
	;; [unrolled: 6-line block ×15, first 2 shown]
.long 0x80605A60
.long 0x82615B61
.long 0xD0C6005C, 0x00000A80
.long 0xD100003F, 0x01727D1B
.long 0xE050D000, 0x8018683F
.long 0xBF8C0F7E
.long 0x0242E121
.long 0x81858105
.long 0xBF05CE05
.long 0xBF850193
.long 0x80605A60
.long 0x82615B61
.long 0xD0C6005C, 0x00000A80
.long 0xD100003F, 0x01727D1B
.long 0xE050D000, 0x8018703F
.long 0xBF8C0F7E
.long 0x0242F121
.long 0x81858105
.long 0xBF05CE05
.long 0xBF850186
	;; [unrolled: 10-line block ×15, first 2 shown]
.long 0x0242E121
.long 0xBF8C0F7B
	;; [unrolled: 1-line block ×221, first 2 shown]
.long 0x7E7C02FF, 0x80000000
.long 0xBEE00016
.long 0xBEE10017
	;; [unrolled: 1-line block ×4, first 2 shown]
.long 0xE050D000, 0x80182822
.long 0xBE850032
.long 0x81858105
	;; [unrolled: 1-line block ×6, first 2 shown]
.long 0xE050D000, 0x80186822
.long 0x81858105
.long 0x80605A60
.long 0x82615B61
.long 0xBF008005
.long 0xBF8501FF
.long 0xE050D000, 0x80187022
.long 0x81858105
.long 0x80605A60
.long 0x82615B61
.long 0xBF008005
.long 0xBF8501F3
	;; [unrolled: 6-line block ×15, first 2 shown]
.long 0x80605A60
.long 0x82615B61
.long 0xD0C6005C, 0x00000A80
.long 0xD100003F, 0x01727D22
.long 0xE050D000, 0x8018683F
.long 0xBF8C0F7E
.long 0x0250E128
.long 0x81858105
.long 0xBF05CE05
.long 0xBF850193
.long 0x80605A60
.long 0x82615B61
.long 0xD0C6005C, 0x00000A80
.long 0xD100003F, 0x01727D22
.long 0xE050D000, 0x8018703F
.long 0xBF8C0F7E
.long 0x0250F128
.long 0x81858105
.long 0xBF05CE05
.long 0xBF850186
	;; [unrolled: 10-line block ×15, first 2 shown]
.long 0x0250E128
.long 0xBF8C0F7B
	;; [unrolled: 1-line block ×221, first 2 shown]
.long 0x7E7C02FF, 0x80000000
.long 0xBEE00016
.long 0xBEE10017
	;; [unrolled: 1-line block ×4, first 2 shown]
.long 0xE050D000, 0x80182F29
.long 0xBE850032
.long 0x81858105
	;; [unrolled: 1-line block ×6, first 2 shown]
.long 0xE050D000, 0x80186829
.long 0x81858105
.long 0x80605A60
.long 0x82615B61
.long 0xBF008005
.long 0xBF8501FF
.long 0xE050D000, 0x80187029
.long 0x81858105
.long 0x80605A60
.long 0x82615B61
.long 0xBF008005
.long 0xBF8501F3
	;; [unrolled: 6-line block ×15, first 2 shown]
.long 0x80605A60
.long 0x82615B61
.long 0xD0C6005C, 0x00000A80
.long 0xD100003F, 0x01727D29
.long 0xE050D000, 0x8018683F
.long 0xBF8C0F7E
.long 0x025EE12F
.long 0x81858105
.long 0xBF05CE05
.long 0xBF850193
.long 0x80605A60
.long 0x82615B61
.long 0xD0C6005C, 0x00000A80
.long 0xD100003F, 0x01727D29
.long 0xE050D000, 0x8018703F
.long 0xBF8C0F7E
.long 0x025EF12F
.long 0x81858105
.long 0xBF05CE05
.long 0xBF850186
	;; [unrolled: 10-line block ×15, first 2 shown]
.long 0x025EE12F
.long 0xBF8C0F7B
	;; [unrolled: 1-line block ×221, first 2 shown]
.long 0x7E7C02FF, 0x80000000
.long 0xBEE00016
.long 0xBEE10017
	;; [unrolled: 1-line block ×4, first 2 shown]
.long 0xE050D000, 0x80183630
.long 0xBE850032
.long 0x81858105
	;; [unrolled: 1-line block ×6, first 2 shown]
.long 0xE050D000, 0x80186830
.long 0x81858105
.long 0x80605A60
.long 0x82615B61
.long 0xBF008005
.long 0xBF8501FF
.long 0xE050D000, 0x80187030
.long 0x81858105
.long 0x80605A60
.long 0x82615B61
.long 0xBF008005
.long 0xBF8501F3
	;; [unrolled: 6-line block ×15, first 2 shown]
.long 0x80605A60
.long 0x82615B61
.long 0xD0C6005C, 0x00000A80
.long 0xD100003F, 0x01727D30
.long 0xE050D000, 0x8018683F
.long 0xBF8C0F7E
.long 0x026CE136
.long 0x81858105
.long 0xBF05CE05
.long 0xBF850193
.long 0x80605A60
.long 0x82615B61
.long 0xD0C6005C, 0x00000A80
.long 0xD100003F, 0x01727D30
.long 0xE050D000, 0x8018703F
.long 0xBF8C0F7E
.long 0x026CF136
.long 0x81858105
.long 0xBF05CE05
.long 0xBF850186
	;; [unrolled: 10-line block ×15, first 2 shown]
.long 0x026CE136
.long 0xBF8C0F7B
	;; [unrolled: 1-line block ×221, first 2 shown]
.long 0x7E7C02FF, 0x80000000
.long 0xBEE00016
.long 0xBEE10017
	;; [unrolled: 1-line block ×4, first 2 shown]
.long 0xE050D000, 0x80183D37
.long 0xBE850032
.long 0x81858105
	;; [unrolled: 1-line block ×6, first 2 shown]
.long 0xE050D000, 0x80186837
.long 0x81858105
.long 0x80605A60
.long 0x82615B61
.long 0xBF008005
.long 0xBF8501FF
.long 0xE050D000, 0x80187037
.long 0x81858105
.long 0x80605A60
.long 0x82615B61
.long 0xBF008005
.long 0xBF8501F3
	;; [unrolled: 6-line block ×15, first 2 shown]
.long 0x80605A60
.long 0x82615B61
.long 0xD0C6005C, 0x00000A80
.long 0xD100003F, 0x01727D37
.long 0xE050D000, 0x8018683F
.long 0xBF8C0F7E
.long 0x027AE13D
.long 0x81858105
.long 0xBF05CE05
.long 0xBF850193
.long 0x80605A60
.long 0x82615B61
.long 0xD0C6005C, 0x00000A80
.long 0xD100003F, 0x01727D37
.long 0xE050D000, 0x8018703F
.long 0xBF8C0F7E
.long 0x027AF13D
.long 0x81858105
.long 0xBF05CE05
.long 0xBF850186
	;; [unrolled: 10-line block ×15, first 2 shown]
.long 0x027AE13D
.long 0xBF8C0F7B
	;; [unrolled: 1-line block ×230, first 2 shown]
.long 0xD0CC0038, 0x0001004A
.long 0xD100000B, 0x00E216F2
.long 0x0A18190B
.long 0x0218190A
.long 0x0A1818FF, 0xBFB8AA3B
.long 0x7E18410C
.long 0xBF800000
.long 0x021818F2
.long 0x7E18450C
.long 0xBF800000
.long 0x7E18150C
.long 0xE068D000, 0x80140C07
.long 0xBF800000
.long 0xD0CC0038, 0x0001004A
.long 0xD1000012, 0x00E224F2
.long 0x0A262712
.long 0x02262711
.long 0x0A2626FF, 0xBFB8AA3B
.long 0x7E264113
.long 0xBF800000
.long 0x022626F2
.long 0x7E264513
.long 0xBF800000
.long 0x7E261513
.long 0xE068D000, 0x8014130E
.long 0xBF800000
	;; [unrolled: 13-line block ×8, first 2 shown]
.long 0xBF800000
.long 0xBF822543
.long 0x7E7C02FF, 0x80000000
.long 0xD0C90054, 0x00003900
	;; [unrolled: 1-line block ×3, first 2 shown]
.long 0x86D85854
.long 0x925402FF, 0x00000080
.long 0xD1350008, 0x0000A900
.long 0x24101082
.long 0xD1000008, 0x0162113E
.long 0xBF8CC07F
.long 0xBF8A0000
.long 0xD86C0000, 0x0A000008
.long 0x24120082
.long 0xE0501000, 0x80120B09
.long 0xD1FE0006, 0x020A0103
.long 0xD1000006, 0x01620D3E
.long 0xD1FE0007, 0x02060103
.long 0xD1000007, 0x01620F3E
.long 0xD1196A04, 0x00010300
.long 0xD0C90054, 0x00003904
.long 0xD0C90058, 0x00003B01
.long 0x86D85854
.long 0x925402FF, 0x00000080
.long 0xD135000F, 0x0000A904
.long 0x241E1E82
.long 0xD100000F, 0x01621F3E
.long 0xD86C0000, 0x1100000F
.long 0x24200882
.long 0xE0501000, 0x80121210
.long 0xD1FE000D, 0x020A0903
.long 0xD100000D, 0x01621B3E
.long 0xD1FE000E, 0x02060903
.long 0xD100000E, 0x01621D3E
.long 0xD1196A04, 0x00010500
.long 0xD0C90054, 0x00003904
.long 0xD0C90058, 0x00003B01
.long 0x86D85854
.long 0x925402FF, 0x00000080
.long 0xD1350016, 0x0000A904
.long 0x242C2C82
.long 0xD1000016, 0x01622D3E
	;; [unrolled: 15-line block ×7, first 2 shown]
.long 0xD86C0000, 0x3B000039
.long 0x24740882
.long 0xE0501000, 0x80123C3A
.long 0xD1FE0037, 0x020A0903
	;; [unrolled: 1-line block ×13, first 2 shown]
.long 0xBF800001
.long 0xE070D000, 0x80030C06
.long 0xE070D000, 0x8003130D
	;; [unrolled: 1-line block ×8, first 2 shown]
.long 0xBF800000
.long 0x92421415
	;; [unrolled: 1-line block ×16, first 2 shown]
.long 0xC2330CCC, 0x00000000
.long 0x965F811C
.long 0x925E811C
	;; [unrolled: 1-line block ×15, first 2 shown]
.long 0x7E7C02FF, 0x80000000
.long 0xBEE00016
.long 0xBEE10017
	;; [unrolled: 1-line block ×7, first 2 shown]
.long 0xE050D000, 0x80180C06
.long 0xBE850032
.long 0x81858105
	;; [unrolled: 1-line block ×6, first 2 shown]
.long 0xE050D000, 0x80186806
.long 0x81858105
.long 0x80605A60
.long 0x82615B61
.long 0xBF008005
.long 0xBF8501FF
.long 0xE050D000, 0x80187006
.long 0x81858105
.long 0x80605A60
.long 0x82615B61
.long 0xBF008005
.long 0xBF8501F3
	;; [unrolled: 6-line block ×15, first 2 shown]
.long 0x80605A60
.long 0x82615B61
.long 0xD0C6005C, 0x00000A80
.long 0xD100003F, 0x01727D06
.long 0xE050D000, 0x8018683F
.long 0xBF8C0F7E
.long 0x0218E10C
.long 0x81858105
.long 0xBF05CE05
.long 0xBF850193
.long 0x80605A60
.long 0x82615B61
.long 0xD0C6005C, 0x00000A80
.long 0xD100003F, 0x01727D06
.long 0xE050D000, 0x8018703F
.long 0xBF8C0F7E
.long 0x0218F10C
.long 0x81858105
.long 0xBF05CE05
.long 0xBF850186
	;; [unrolled: 10-line block ×15, first 2 shown]
.long 0x0218E10C
.long 0xBF8C0F7B
	;; [unrolled: 1-line block ×221, first 2 shown]
.long 0x7E7C02FF, 0x80000000
.long 0xBEE00016
.long 0xBEE10017
	;; [unrolled: 1-line block ×4, first 2 shown]
.long 0xE050D000, 0x8018130D
.long 0xBE850032
.long 0x81858105
	;; [unrolled: 1-line block ×6, first 2 shown]
.long 0xE050D000, 0x8018680D
.long 0x81858105
.long 0x80605A60
.long 0x82615B61
.long 0xBF008005
.long 0xBF8501FF
.long 0xE050D000, 0x8018700D
.long 0x81858105
.long 0x80605A60
.long 0x82615B61
.long 0xBF008005
.long 0xBF8501F3
.long 0xE050D000, 0x8018780D
.long 0x81858105
.long 0x80605A60
.long 0x82615B61
.long 0xBF008005
.long 0xBF8501E5
.long 0xE050D000, 0x8018800D
.long 0x81858105
.long 0x80605A60
.long 0x82615B61
.long 0xBF008005
.long 0xBF8501D5
.long 0xE050D000, 0x8018880D
.long 0x81858105
.long 0x80605A60
.long 0x82615B61
.long 0xBF008005
.long 0xBF8501C3
.long 0xE050D000, 0x8018900D
.long 0x81858105
.long 0x80605A60
.long 0x82615B61
.long 0xBF008005
.long 0xBF8501AF
.long 0xE050D000, 0x8018980D
.long 0x81858105
.long 0x80605A60
.long 0x82615B61
.long 0xBF008005
.long 0xBF850199
.long 0xE050D000, 0x8018A00D
.long 0x81858105
.long 0x80605A60
.long 0x82615B61
.long 0xBF008005
.long 0xBF850181
.long 0xE050D000, 0x8018A80D
.long 0x81858105
.long 0x80605A60
.long 0x82615B61
.long 0xBF008005
.long 0xBF850167
.long 0xE050D000, 0x8018B00D
.long 0x81858105
.long 0x80605A60
.long 0x82615B61
.long 0xBF008005
.long 0xBF85014B
.long 0xE050D000, 0x8018B80D
.long 0x81858105
.long 0x80605A60
.long 0x82615B61
.long 0xBF008005
.long 0xBF85012D
.long 0xE050D000, 0x8018C00D
.long 0x81858105
.long 0x80605A60
.long 0x82615B61
.long 0xBF008005
.long 0xBF85010D
.long 0xE050D000, 0x8018C80D
.long 0x81858105
.long 0x80605A60
.long 0x82615B61
.long 0xBF008005
.long 0xBF8500EB
.long 0xE050D000, 0x8018D00D
.long 0x81858105
.long 0x80605A60
.long 0x82615B61
.long 0xBF008005
.long 0xBF8500C7
.long 0xE050D000, 0x8018D80D
.long 0xBF8C0F7E
.long 0x0226D113
.long 0x81858105
.long 0xBF05CE05
.long 0xBF8501A0
.long 0x80605A60
.long 0x82615B61
.long 0xD0C6005C, 0x00000A80
.long 0xD100003F, 0x01727D0D
.long 0xE050D000, 0x8018683F
.long 0xBF8C0F7E
.long 0x0226E113
.long 0x81858105
.long 0xBF05CE05
.long 0xBF850193
.long 0x80605A60
.long 0x82615B61
.long 0xD0C6005C, 0x00000A80
.long 0xD100003F, 0x01727D0D
.long 0xE050D000, 0x8018703F
.long 0xBF8C0F7E
.long 0x0226F113
.long 0x81858105
.long 0xBF05CE05
.long 0xBF850186
.long 0x80605A60
.long 0x82615B61
.long 0xD0C6005C, 0x00000A80
.long 0xD100003F, 0x01727D0D
.long 0xE050D000, 0x8018783F
.long 0xBF8C0F7E
.long 0x02270113
.long 0x81858105
.long 0xBF05CE05
.long 0xBF850179
.long 0x80605A60
.long 0x82615B61
.long 0xD0C6005C, 0x00000A80
.long 0xD100003F, 0x01727D0D
.long 0xE050D000, 0x8018803F
.long 0xBF8C0F7E
.long 0x02271113
.long 0x81858105
.long 0xBF05CE05
.long 0xBF85016C
.long 0x80605A60
.long 0x82615B61
.long 0xD0C6005C, 0x00000A80
.long 0xD100003F, 0x01727D0D
.long 0xE050D000, 0x8018883F
.long 0xBF8C0F7E
.long 0x02272113
.long 0x81858105
.long 0xBF05CE05
.long 0xBF85015F
.long 0x80605A60
.long 0x82615B61
.long 0xD0C6005C, 0x00000A80
.long 0xD100003F, 0x01727D0D
.long 0xE050D000, 0x8018903F
.long 0xBF8C0F7E
.long 0x02273113
.long 0x81858105
.long 0xBF05CE05
.long 0xBF850152
.long 0x80605A60
.long 0x82615B61
.long 0xD0C6005C, 0x00000A80
.long 0xD100003F, 0x01727D0D
.long 0xE050D000, 0x8018983F
.long 0xBF8C0F7E
.long 0x02274113
.long 0x81858105
.long 0xBF05CE05
.long 0xBF850145
.long 0x80605A60
.long 0x82615B61
.long 0xD0C6005C, 0x00000A80
.long 0xD100003F, 0x01727D0D
.long 0xE050D000, 0x8018A03F
.long 0xBF8C0F7E
.long 0x02275113
.long 0x81858105
.long 0xBF05CE05
.long 0xBF850138
.long 0x80605A60
.long 0x82615B61
.long 0xD0C6005C, 0x00000A80
.long 0xD100003F, 0x01727D0D
.long 0xE050D000, 0x8018A83F
.long 0xBF8C0F7E
.long 0x02276113
.long 0x81858105
.long 0xBF05CE05
.long 0xBF85012B
.long 0x80605A60
.long 0x82615B61
.long 0xD0C6005C, 0x00000A80
.long 0xD100003F, 0x01727D0D
.long 0xE050D000, 0x8018B03F
.long 0xBF8C0F7E
.long 0x02277113
.long 0x81858105
.long 0xBF05CE05
.long 0xBF85011E
.long 0x80605A60
.long 0x82615B61
.long 0xD0C6005C, 0x00000A80
.long 0xD100003F, 0x01727D0D
.long 0xE050D000, 0x8018B83F
.long 0xBF8C0F7E
.long 0x02278113
.long 0x81858105
.long 0xBF05CE05
.long 0xBF850111
.long 0x80605A60
.long 0x82615B61
.long 0xD0C6005C, 0x00000A80
.long 0xD100003F, 0x01727D0D
.long 0xE050D000, 0x8018C03F
.long 0xBF8C0F7E
.long 0x02279113
.long 0x81858105
.long 0xBF05CE05
.long 0xBF850104
.long 0x80605A60
.long 0x82615B61
.long 0xD0C6005C, 0x00000A80
.long 0xD100003F, 0x01727D0D
.long 0xE050D000, 0x8018C83F
.long 0xBF8C0F7E
.long 0x0227A113
.long 0x81858105
.long 0xBF05CE05
.long 0xBF8500F7
.long 0x80605A60
.long 0x82615B61
.long 0xD0C6005C, 0x00000A80
.long 0xD100003F, 0x01727D0D
.long 0xE050D000, 0x8018D03F
.long 0xBF8C0F7E
.long 0x0227B113
.long 0x81858105
.long 0xBF05CE05
.long 0xBF8500EA
.long 0x80605A60
.long 0x82615B61
.long 0xD0C6005C, 0x00000A80
.long 0xD100003F, 0x01727D0D
.long 0xE050D000, 0x8018D83F
.long 0xBF02CE05
.long 0xBF85FF3B
.long 0xBF8C0F7D
.long 0x0226D113
.long 0xBF8C0F7C
.long 0x0226E113
.long 0xBF8C0F7B
	;; [unrolled: 1-line block ×221, first 2 shown]
.long 0x7E7C02FF, 0x80000000
.long 0xBEE00016
.long 0xBEE10017
	;; [unrolled: 1-line block ×4, first 2 shown]
.long 0xE050D000, 0x80181A14
.long 0xBE850032
.long 0x81858105
	;; [unrolled: 1-line block ×6, first 2 shown]
.long 0xE050D000, 0x80186814
.long 0x81858105
.long 0x80605A60
.long 0x82615B61
.long 0xBF008005
.long 0xBF8501FF
.long 0xE050D000, 0x80187014
.long 0x81858105
.long 0x80605A60
.long 0x82615B61
.long 0xBF008005
.long 0xBF8501F3
	;; [unrolled: 6-line block ×15, first 2 shown]
.long 0x80605A60
.long 0x82615B61
.long 0xD0C6005C, 0x00000A80
.long 0xD100003F, 0x01727D14
.long 0xE050D000, 0x8018683F
.long 0xBF8C0F7E
.long 0x0234E11A
.long 0x81858105
.long 0xBF05CE05
.long 0xBF850193
.long 0x80605A60
.long 0x82615B61
.long 0xD0C6005C, 0x00000A80
.long 0xD100003F, 0x01727D14
.long 0xE050D000, 0x8018703F
.long 0xBF8C0F7E
.long 0x0234F11A
.long 0x81858105
.long 0xBF05CE05
.long 0xBF850186
	;; [unrolled: 10-line block ×15, first 2 shown]
.long 0x0234E11A
.long 0xBF8C0F7B
	;; [unrolled: 1-line block ×221, first 2 shown]
.long 0x7E7C02FF, 0x80000000
.long 0xBEE00016
.long 0xBEE10017
	;; [unrolled: 1-line block ×4, first 2 shown]
.long 0xE050D000, 0x8018211B
.long 0xBE850032
.long 0x81858105
	;; [unrolled: 1-line block ×6, first 2 shown]
.long 0xE050D000, 0x8018681B
.long 0x81858105
.long 0x80605A60
.long 0x82615B61
.long 0xBF008005
.long 0xBF8501FF
.long 0xE050D000, 0x8018701B
.long 0x81858105
.long 0x80605A60
.long 0x82615B61
.long 0xBF008005
.long 0xBF8501F3
	;; [unrolled: 6-line block ×15, first 2 shown]
.long 0x80605A60
.long 0x82615B61
.long 0xD0C6005C, 0x00000A80
.long 0xD100003F, 0x01727D1B
.long 0xE050D000, 0x8018683F
.long 0xBF8C0F7E
.long 0x0242E121
.long 0x81858105
.long 0xBF05CE05
.long 0xBF850193
.long 0x80605A60
.long 0x82615B61
.long 0xD0C6005C, 0x00000A80
.long 0xD100003F, 0x01727D1B
.long 0xE050D000, 0x8018703F
.long 0xBF8C0F7E
.long 0x0242F121
.long 0x81858105
.long 0xBF05CE05
.long 0xBF850186
	;; [unrolled: 10-line block ×15, first 2 shown]
.long 0x0242E121
.long 0xBF8C0F7B
	;; [unrolled: 1-line block ×221, first 2 shown]
.long 0x7E7C02FF, 0x80000000
.long 0xBEE00016
.long 0xBEE10017
	;; [unrolled: 1-line block ×4, first 2 shown]
.long 0xE050D000, 0x80182822
.long 0xBE850032
.long 0x81858105
	;; [unrolled: 1-line block ×6, first 2 shown]
.long 0xE050D000, 0x80186822
.long 0x81858105
.long 0x80605A60
.long 0x82615B61
.long 0xBF008005
.long 0xBF8501FF
.long 0xE050D000, 0x80187022
.long 0x81858105
.long 0x80605A60
.long 0x82615B61
.long 0xBF008005
.long 0xBF8501F3
	;; [unrolled: 6-line block ×15, first 2 shown]
.long 0x80605A60
.long 0x82615B61
.long 0xD0C6005C, 0x00000A80
.long 0xD100003F, 0x01727D22
.long 0xE050D000, 0x8018683F
.long 0xBF8C0F7E
.long 0x0250E128
.long 0x81858105
.long 0xBF05CE05
.long 0xBF850193
.long 0x80605A60
.long 0x82615B61
.long 0xD0C6005C, 0x00000A80
.long 0xD100003F, 0x01727D22
.long 0xE050D000, 0x8018703F
.long 0xBF8C0F7E
.long 0x0250F128
.long 0x81858105
.long 0xBF05CE05
.long 0xBF850186
	;; [unrolled: 10-line block ×15, first 2 shown]
.long 0x0250E128
.long 0xBF8C0F7B
	;; [unrolled: 1-line block ×221, first 2 shown]
.long 0x7E7C02FF, 0x80000000
.long 0xBEE00016
.long 0xBEE10017
	;; [unrolled: 1-line block ×4, first 2 shown]
.long 0xE050D000, 0x80182F29
.long 0xBE850032
.long 0x81858105
	;; [unrolled: 1-line block ×6, first 2 shown]
.long 0xE050D000, 0x80186829
.long 0x81858105
.long 0x80605A60
.long 0x82615B61
.long 0xBF008005
.long 0xBF8501FF
.long 0xE050D000, 0x80187029
.long 0x81858105
.long 0x80605A60
.long 0x82615B61
.long 0xBF008005
.long 0xBF8501F3
	;; [unrolled: 6-line block ×15, first 2 shown]
.long 0x80605A60
.long 0x82615B61
.long 0xD0C6005C, 0x00000A80
.long 0xD100003F, 0x01727D29
.long 0xE050D000, 0x8018683F
.long 0xBF8C0F7E
.long 0x025EE12F
.long 0x81858105
.long 0xBF05CE05
.long 0xBF850193
.long 0x80605A60
.long 0x82615B61
.long 0xD0C6005C, 0x00000A80
.long 0xD100003F, 0x01727D29
.long 0xE050D000, 0x8018703F
.long 0xBF8C0F7E
.long 0x025EF12F
.long 0x81858105
.long 0xBF05CE05
.long 0xBF850186
	;; [unrolled: 10-line block ×15, first 2 shown]
.long 0x025EE12F
.long 0xBF8C0F7B
	;; [unrolled: 1-line block ×221, first 2 shown]
.long 0x7E7C02FF, 0x80000000
.long 0xBEE00016
.long 0xBEE10017
	;; [unrolled: 1-line block ×4, first 2 shown]
.long 0xE050D000, 0x80183630
.long 0xBE850032
.long 0x81858105
	;; [unrolled: 1-line block ×6, first 2 shown]
.long 0xE050D000, 0x80186830
.long 0x81858105
.long 0x80605A60
.long 0x82615B61
.long 0xBF008005
.long 0xBF8501FF
.long 0xE050D000, 0x80187030
.long 0x81858105
.long 0x80605A60
.long 0x82615B61
.long 0xBF008005
.long 0xBF8501F3
	;; [unrolled: 6-line block ×15, first 2 shown]
.long 0x80605A60
.long 0x82615B61
.long 0xD0C6005C, 0x00000A80
.long 0xD100003F, 0x01727D30
.long 0xE050D000, 0x8018683F
.long 0xBF8C0F7E
.long 0x026CE136
.long 0x81858105
.long 0xBF05CE05
.long 0xBF850193
.long 0x80605A60
.long 0x82615B61
.long 0xD0C6005C, 0x00000A80
.long 0xD100003F, 0x01727D30
.long 0xE050D000, 0x8018703F
.long 0xBF8C0F7E
.long 0x026CF136
.long 0x81858105
.long 0xBF05CE05
.long 0xBF850186
	;; [unrolled: 10-line block ×15, first 2 shown]
.long 0x026CE136
.long 0xBF8C0F7B
	;; [unrolled: 1-line block ×221, first 2 shown]
.long 0x7E7C02FF, 0x80000000
.long 0xBEE00016
.long 0xBEE10017
	;; [unrolled: 1-line block ×4, first 2 shown]
.long 0xE050D000, 0x80183D37
.long 0xBE850032
.long 0x81858105
	;; [unrolled: 1-line block ×6, first 2 shown]
.long 0xE050D000, 0x80186837
.long 0x81858105
.long 0x80605A60
.long 0x82615B61
.long 0xBF008005
.long 0xBF8501FF
.long 0xE050D000, 0x80187037
.long 0x81858105
.long 0x80605A60
.long 0x82615B61
.long 0xBF008005
.long 0xBF8501F3
	;; [unrolled: 6-line block ×15, first 2 shown]
.long 0x80605A60
.long 0x82615B61
.long 0xD0C6005C, 0x00000A80
.long 0xD100003F, 0x01727D37
.long 0xE050D000, 0x8018683F
.long 0xBF8C0F7E
.long 0x027AE13D
.long 0x81858105
.long 0xBF05CE05
.long 0xBF850193
.long 0x80605A60
.long 0x82615B61
.long 0xD0C6005C, 0x00000A80
.long 0xD100003F, 0x01727D37
.long 0xE050D000, 0x8018703F
.long 0xBF8C0F7E
.long 0x027AF13D
.long 0x81858105
.long 0xBF05CE05
.long 0xBF850186
	;; [unrolled: 10-line block ×15, first 2 shown]
.long 0x027AE13D
.long 0xBF8C0F7B
	;; [unrolled: 1-line block ×230, first 2 shown]
.long 0xD0CC0038, 0x0001004A
.long 0xD100000B, 0x00E216F2
.long 0x0A18190B
.long 0x0218190A
.long 0x0A18183E
.long 0x0A1818FF, 0x4038AA3B
.long 0x7E18410C
.long 0xBF800000
.long 0x021818F2
.long 0x7E18450C
.long 0xBF800000
.long 0xD1CB000C, 0x03CA18F5
.long 0x0A18183F
.long 0x7E18150C
.long 0xE068D000, 0x80140C07
.long 0xBF800000
.long 0xD0CC0038, 0x0001004A
.long 0xD1000012, 0x00E224F2
.long 0x0A262712
.long 0x02262711
.long 0x0A26263E
.long 0x0A2626FF, 0x4038AA3B
.long 0x7E264113
.long 0xBF800000
.long 0x022626F2
.long 0x7E264513
.long 0xBF800000
.long 0xD1CB0013, 0x03CA26F5
.long 0x0A26263F
.long 0x7E261513
.long 0xE068D000, 0x8014130E
.long 0xBF800000
	;; [unrolled: 16-line block ×8, first 2 shown]
.long 0xBF800000
.long 0xBF8212B9
.long 0x7E7C02FF, 0x80000000
.long 0xD0C90054, 0x00003900
	;; [unrolled: 1-line block ×3, first 2 shown]
.long 0x86D85854
.long 0x925402FF, 0x00000080
.long 0xD1350008, 0x0000A900
.long 0x24101082
.long 0xD1000008, 0x0162113E
.long 0xBF8CC07F
.long 0xBF8A0000
.long 0xD86C0000, 0x0A000008
.long 0x24120082
.long 0xE0501000, 0x80120B09
.long 0xD1FE0006, 0x020A0103
.long 0xD1000006, 0x01620D3E
.long 0xD1FE0007, 0x02060103
.long 0xD1000007, 0x01620F3E
.long 0xD1196A04, 0x00010300
.long 0xD0C90054, 0x00003904
.long 0xD0C90058, 0x00003B01
.long 0x86D85854
.long 0x925402FF, 0x00000080
.long 0xD135000F, 0x0000A904
.long 0x241E1E82
.long 0xD100000F, 0x01621F3E
.long 0xD86C0000, 0x1100000F
.long 0x24200882
.long 0xE0501000, 0x80121210
.long 0xD1FE000D, 0x020A0903
.long 0xD100000D, 0x01621B3E
.long 0xD1FE000E, 0x02060903
.long 0xD100000E, 0x01621D3E
.long 0xD1196A04, 0x00010500
.long 0xD0C90054, 0x00003904
.long 0xD0C90058, 0x00003B01
.long 0x86D85854
.long 0x925402FF, 0x00000080
.long 0xD1350016, 0x0000A904
.long 0x242C2C82
.long 0xD1000016, 0x01622D3E
	;; [unrolled: 15-line block ×7, first 2 shown]
.long 0xD86C0000, 0x3B000039
.long 0x24740882
.long 0xE0501000, 0x80123C3A
.long 0xD1FE0037, 0x020A0903
	;; [unrolled: 1-line block ×13, first 2 shown]
.long 0xBF800001
.long 0xE070D000, 0x80030C06
.long 0xE070D000, 0x8003130D
	;; [unrolled: 1-line block ×8, first 2 shown]
.long 0xBF800000
.long 0x92421415
	;; [unrolled: 1-line block ×16, first 2 shown]
.long 0xC2330CCC, 0x00000000
.long 0x965F811C
.long 0x925E811C
	;; [unrolled: 1-line block ×15, first 2 shown]
.long 0x7E7C02FF, 0x80000000
.long 0xBEE00016
.long 0xBEE10017
	;; [unrolled: 1-line block ×7, first 2 shown]
.long 0xE050D000, 0x80180C06
.long 0xBE850032
.long 0x81858105
	;; [unrolled: 1-line block ×6, first 2 shown]
.long 0xE050D000, 0x80186806
.long 0x81858105
.long 0x80605A60
.long 0x82615B61
.long 0xBF008005
.long 0xBF8501FF
.long 0xE050D000, 0x80187006
.long 0x81858105
.long 0x80605A60
.long 0x82615B61
.long 0xBF008005
.long 0xBF8501F3
.long 0xE050D000, 0x80187806
.long 0x81858105
.long 0x80605A60
.long 0x82615B61
.long 0xBF008005
.long 0xBF8501E5
.long 0xE050D000, 0x80188006
.long 0x81858105
.long 0x80605A60
.long 0x82615B61
.long 0xBF008005
.long 0xBF8501D5
.long 0xE050D000, 0x80188806
.long 0x81858105
.long 0x80605A60
.long 0x82615B61
.long 0xBF008005
.long 0xBF8501C3
.long 0xE050D000, 0x80189006
.long 0x81858105
.long 0x80605A60
.long 0x82615B61
.long 0xBF008005
.long 0xBF8501AF
.long 0xE050D000, 0x80189806
.long 0x81858105
.long 0x80605A60
.long 0x82615B61
.long 0xBF008005
.long 0xBF850199
.long 0xE050D000, 0x8018A006
.long 0x81858105
.long 0x80605A60
.long 0x82615B61
.long 0xBF008005
.long 0xBF850181
.long 0xE050D000, 0x8018A806
.long 0x81858105
.long 0x80605A60
.long 0x82615B61
.long 0xBF008005
.long 0xBF850167
.long 0xE050D000, 0x8018B006
.long 0x81858105
.long 0x80605A60
.long 0x82615B61
.long 0xBF008005
.long 0xBF85014B
.long 0xE050D000, 0x8018B806
.long 0x81858105
.long 0x80605A60
.long 0x82615B61
.long 0xBF008005
.long 0xBF85012D
.long 0xE050D000, 0x8018C006
.long 0x81858105
.long 0x80605A60
.long 0x82615B61
.long 0xBF008005
.long 0xBF85010D
.long 0xE050D000, 0x8018C806
.long 0x81858105
.long 0x80605A60
.long 0x82615B61
.long 0xBF008005
.long 0xBF8500EB
.long 0xE050D000, 0x8018D006
.long 0x81858105
.long 0x80605A60
.long 0x82615B61
.long 0xBF008005
.long 0xBF8500C7
.long 0xE050D000, 0x8018D806
.long 0xBF8C0F7E
.long 0x0218D10C
.long 0x81858105
.long 0xBF05CE05
.long 0xBF8501A0
.long 0x80605A60
.long 0x82615B61
.long 0xD0C6005C, 0x00000A80
.long 0xD100003F, 0x01727D06
.long 0xE050D000, 0x8018683F
.long 0xBF8C0F7E
.long 0x0218E10C
.long 0x81858105
.long 0xBF05CE05
.long 0xBF850193
.long 0x80605A60
.long 0x82615B61
.long 0xD0C6005C, 0x00000A80
.long 0xD100003F, 0x01727D06
.long 0xE050D000, 0x8018703F
.long 0xBF8C0F7E
.long 0x0218F10C
.long 0x81858105
.long 0xBF05CE05
.long 0xBF850186
	;; [unrolled: 10-line block ×15, first 2 shown]
.long 0x0218E10C
.long 0xBF8C0F7B
	;; [unrolled: 1-line block ×221, first 2 shown]
.long 0x7E7C02FF, 0x80000000
.long 0xBEE00016
.long 0xBEE10017
.long 0xBEE2000E
.long 0xBEE3000F
.long 0xE050D000, 0x8018130D
.long 0xBE850032
.long 0x81858105
	;; [unrolled: 1-line block ×6, first 2 shown]
.long 0xE050D000, 0x8018680D
.long 0x81858105
.long 0x80605A60
.long 0x82615B61
.long 0xBF008005
.long 0xBF8501FF
.long 0xE050D000, 0x8018700D
.long 0x81858105
.long 0x80605A60
.long 0x82615B61
.long 0xBF008005
.long 0xBF8501F3
	;; [unrolled: 6-line block ×15, first 2 shown]
.long 0x80605A60
.long 0x82615B61
.long 0xD0C6005C, 0x00000A80
.long 0xD100003F, 0x01727D0D
.long 0xE050D000, 0x8018683F
.long 0xBF8C0F7E
.long 0x0226E113
.long 0x81858105
.long 0xBF05CE05
.long 0xBF850193
.long 0x80605A60
.long 0x82615B61
.long 0xD0C6005C, 0x00000A80
.long 0xD100003F, 0x01727D0D
.long 0xE050D000, 0x8018703F
.long 0xBF8C0F7E
.long 0x0226F113
.long 0x81858105
.long 0xBF05CE05
.long 0xBF850186
.long 0x80605A60
.long 0x82615B61
.long 0xD0C6005C, 0x00000A80
.long 0xD100003F, 0x01727D0D
.long 0xE050D000, 0x8018783F
.long 0xBF8C0F7E
.long 0x02270113
.long 0x81858105
.long 0xBF05CE05
.long 0xBF850179
.long 0x80605A60
.long 0x82615B61
.long 0xD0C6005C, 0x00000A80
.long 0xD100003F, 0x01727D0D
.long 0xE050D000, 0x8018803F
.long 0xBF8C0F7E
.long 0x02271113
.long 0x81858105
.long 0xBF05CE05
.long 0xBF85016C
.long 0x80605A60
.long 0x82615B61
.long 0xD0C6005C, 0x00000A80
.long 0xD100003F, 0x01727D0D
.long 0xE050D000, 0x8018883F
.long 0xBF8C0F7E
.long 0x02272113
.long 0x81858105
.long 0xBF05CE05
.long 0xBF85015F
.long 0x80605A60
.long 0x82615B61
.long 0xD0C6005C, 0x00000A80
.long 0xD100003F, 0x01727D0D
.long 0xE050D000, 0x8018903F
.long 0xBF8C0F7E
.long 0x02273113
.long 0x81858105
.long 0xBF05CE05
.long 0xBF850152
.long 0x80605A60
.long 0x82615B61
.long 0xD0C6005C, 0x00000A80
.long 0xD100003F, 0x01727D0D
.long 0xE050D000, 0x8018983F
.long 0xBF8C0F7E
.long 0x02274113
.long 0x81858105
.long 0xBF05CE05
.long 0xBF850145
.long 0x80605A60
.long 0x82615B61
.long 0xD0C6005C, 0x00000A80
.long 0xD100003F, 0x01727D0D
.long 0xE050D000, 0x8018A03F
.long 0xBF8C0F7E
.long 0x02275113
.long 0x81858105
.long 0xBF05CE05
.long 0xBF850138
.long 0x80605A60
.long 0x82615B61
.long 0xD0C6005C, 0x00000A80
.long 0xD100003F, 0x01727D0D
.long 0xE050D000, 0x8018A83F
.long 0xBF8C0F7E
.long 0x02276113
.long 0x81858105
.long 0xBF05CE05
.long 0xBF85012B
.long 0x80605A60
.long 0x82615B61
.long 0xD0C6005C, 0x00000A80
.long 0xD100003F, 0x01727D0D
.long 0xE050D000, 0x8018B03F
.long 0xBF8C0F7E
.long 0x02277113
.long 0x81858105
.long 0xBF05CE05
.long 0xBF85011E
.long 0x80605A60
.long 0x82615B61
.long 0xD0C6005C, 0x00000A80
.long 0xD100003F, 0x01727D0D
.long 0xE050D000, 0x8018B83F
.long 0xBF8C0F7E
.long 0x02278113
.long 0x81858105
.long 0xBF05CE05
.long 0xBF850111
.long 0x80605A60
.long 0x82615B61
.long 0xD0C6005C, 0x00000A80
.long 0xD100003F, 0x01727D0D
.long 0xE050D000, 0x8018C03F
.long 0xBF8C0F7E
.long 0x02279113
.long 0x81858105
.long 0xBF05CE05
.long 0xBF850104
.long 0x80605A60
.long 0x82615B61
.long 0xD0C6005C, 0x00000A80
.long 0xD100003F, 0x01727D0D
.long 0xE050D000, 0x8018C83F
.long 0xBF8C0F7E
.long 0x0227A113
.long 0x81858105
.long 0xBF05CE05
.long 0xBF8500F7
.long 0x80605A60
.long 0x82615B61
.long 0xD0C6005C, 0x00000A80
.long 0xD100003F, 0x01727D0D
.long 0xE050D000, 0x8018D03F
.long 0xBF8C0F7E
.long 0x0227B113
.long 0x81858105
.long 0xBF05CE05
.long 0xBF8500EA
.long 0x80605A60
.long 0x82615B61
.long 0xD0C6005C, 0x00000A80
.long 0xD100003F, 0x01727D0D
.long 0xE050D000, 0x8018D83F
.long 0xBF02CE05
.long 0xBF85FF3B
.long 0xBF8C0F7D
.long 0x0226D113
.long 0xBF8C0F7C
.long 0x0226E113
.long 0xBF8C0F7B
	;; [unrolled: 1-line block ×221, first 2 shown]
.long 0x7E7C02FF, 0x80000000
.long 0xBEE00016
.long 0xBEE10017
	;; [unrolled: 1-line block ×4, first 2 shown]
.long 0xE050D000, 0x80181A14
.long 0xBE850032
.long 0x81858105
	;; [unrolled: 1-line block ×6, first 2 shown]
.long 0xE050D000, 0x80186814
.long 0x81858105
.long 0x80605A60
.long 0x82615B61
.long 0xBF008005
.long 0xBF8501FF
.long 0xE050D000, 0x80187014
.long 0x81858105
.long 0x80605A60
.long 0x82615B61
.long 0xBF008005
.long 0xBF8501F3
	;; [unrolled: 6-line block ×15, first 2 shown]
.long 0x80605A60
.long 0x82615B61
.long 0xD0C6005C, 0x00000A80
.long 0xD100003F, 0x01727D14
.long 0xE050D000, 0x8018683F
.long 0xBF8C0F7E
.long 0x0234E11A
.long 0x81858105
.long 0xBF05CE05
.long 0xBF850193
.long 0x80605A60
.long 0x82615B61
.long 0xD0C6005C, 0x00000A80
.long 0xD100003F, 0x01727D14
.long 0xE050D000, 0x8018703F
.long 0xBF8C0F7E
.long 0x0234F11A
.long 0x81858105
.long 0xBF05CE05
.long 0xBF850186
	;; [unrolled: 10-line block ×15, first 2 shown]
.long 0x0234E11A
.long 0xBF8C0F7B
.long 0x0234F11A
.long 0xBF8C0F7A
.long 0x0235011A
.long 0xBF8C0F79
.long 0x0235111A
.long 0xBF8C0F78
.long 0x0235211A
.long 0xBF8C0F77
.long 0x0235311A
.long 0xBF8C0F76
.long 0x0235411A
.long 0xBF8C0F75
.long 0x0235511A
.long 0xBF8C0F74
.long 0x0235611A
.long 0xBF8C0F73
.long 0x0235711A
.long 0xBF8C0F72
.long 0x0235811A
.long 0xBF8C0F71
.long 0x0235911A
.long 0xBF8C0F70
.long 0x0235A11A
.long 0xBF8200C3
.long 0xBF8C0F7C
.long 0x0234D11A
.long 0xBF8C0F7B
.long 0x0234E11A
.long 0xBF8C0F7A
.long 0x0234F11A
.long 0xBF8C0F79
.long 0x0235011A
.long 0xBF8C0F78
.long 0x0235111A
.long 0xBF8C0F77
.long 0x0235211A
.long 0xBF8C0F76
.long 0x0235311A
.long 0xBF8C0F75
.long 0x0235411A
.long 0xBF8C0F74
.long 0x0235511A
.long 0xBF8C0F73
.long 0x0235611A
.long 0xBF8C0F72
.long 0x0235711A
.long 0xBF8C0F71
.long 0x0235811A
.long 0xBF8C0F70
.long 0x0235911A
.long 0xBF8200A8
.long 0xBF8C0F7B
.long 0x0234D11A
.long 0xBF8C0F7A
.long 0x0234E11A
.long 0xBF8C0F79
.long 0x0234F11A
.long 0xBF8C0F78
.long 0x0235011A
.long 0xBF8C0F77
.long 0x0235111A
.long 0xBF8C0F76
.long 0x0235211A
.long 0xBF8C0F75
.long 0x0235311A
.long 0xBF8C0F74
.long 0x0235411A
.long 0xBF8C0F73
.long 0x0235511A
.long 0xBF8C0F72
.long 0x0235611A
.long 0xBF8C0F71
.long 0x0235711A
.long 0xBF8C0F70
.long 0x0235811A
.long 0xBF82008F
.long 0xBF8C0F7A
.long 0x0234D11A
.long 0xBF8C0F79
.long 0x0234E11A
.long 0xBF8C0F78
.long 0x0234F11A
.long 0xBF8C0F77
.long 0x0235011A
.long 0xBF8C0F76
.long 0x0235111A
.long 0xBF8C0F75
.long 0x0235211A
.long 0xBF8C0F74
.long 0x0235311A
.long 0xBF8C0F73
.long 0x0235411A
.long 0xBF8C0F72
.long 0x0235511A
.long 0xBF8C0F71
.long 0x0235611A
.long 0xBF8C0F70
.long 0x0235711A
.long 0xBF820078
.long 0xBF8C0F79
.long 0x0234D11A
.long 0xBF8C0F78
.long 0x0234E11A
.long 0xBF8C0F77
.long 0x0234F11A
.long 0xBF8C0F76
.long 0x0235011A
.long 0xBF8C0F75
.long 0x0235111A
.long 0xBF8C0F74
.long 0x0235211A
.long 0xBF8C0F73
.long 0x0235311A
.long 0xBF8C0F72
.long 0x0235411A
.long 0xBF8C0F71
.long 0x0235511A
.long 0xBF8C0F70
.long 0x0235611A
.long 0xBF820063
.long 0xBF8C0F78
.long 0x0234D11A
.long 0xBF8C0F77
.long 0x0234E11A
.long 0xBF8C0F76
.long 0x0234F11A
.long 0xBF8C0F75
.long 0x0235011A
.long 0xBF8C0F74
.long 0x0235111A
.long 0xBF8C0F73
.long 0x0235211A
.long 0xBF8C0F72
.long 0x0235311A
.long 0xBF8C0F71
.long 0x0235411A
.long 0xBF8C0F70
.long 0x0235511A
.long 0xBF820050
.long 0xBF8C0F77
.long 0x0234D11A
.long 0xBF8C0F76
.long 0x0234E11A
.long 0xBF8C0F75
.long 0x0234F11A
.long 0xBF8C0F74
.long 0x0235011A
.long 0xBF8C0F73
.long 0x0235111A
.long 0xBF8C0F72
.long 0x0235211A
.long 0xBF8C0F71
.long 0x0235311A
.long 0xBF8C0F70
.long 0x0235411A
.long 0xBF82003F
.long 0xBF8C0F76
.long 0x0234D11A
.long 0xBF8C0F75
.long 0x0234E11A
.long 0xBF8C0F74
.long 0x0234F11A
.long 0xBF8C0F73
.long 0x0235011A
.long 0xBF8C0F72
.long 0x0235111A
.long 0xBF8C0F71
.long 0x0235211A
.long 0xBF8C0F70
.long 0x0235311A
.long 0xBF820030
.long 0xBF8C0F75
.long 0x0234D11A
.long 0xBF8C0F74
.long 0x0234E11A
.long 0xBF8C0F73
.long 0x0234F11A
.long 0xBF8C0F72
.long 0x0235011A
.long 0xBF8C0F71
.long 0x0235111A
.long 0xBF8C0F70
.long 0x0235211A
.long 0xBF820023
.long 0xBF8C0F74
.long 0x0234D11A
.long 0xBF8C0F73
.long 0x0234E11A
.long 0xBF8C0F72
.long 0x0234F11A
.long 0xBF8C0F71
.long 0x0235011A
.long 0xBF8C0F70
.long 0x0235111A
.long 0xBF820018
.long 0xBF8C0F73
.long 0x0234D11A
.long 0xBF8C0F72
.long 0x0234E11A
.long 0xBF8C0F71
.long 0x0234F11A
.long 0xBF8C0F70
.long 0x0235011A
.long 0xBF82000F
.long 0xBF8C0F72
.long 0x0234D11A
.long 0xBF8C0F71
.long 0x0234E11A
.long 0xBF8C0F70
.long 0x0234F11A
.long 0xBF820008
.long 0xBF8C0F71
.long 0x0234D11A
.long 0xBF8C0F70
.long 0x0234E11A
.long 0xBF820003
.long 0xBF8C0F70
.long 0x0234D11A
.long 0xBF820000
.long 0x7E7C02FF, 0x80000000
.long 0xBEE00016
.long 0xBEE10017
	;; [unrolled: 1-line block ×4, first 2 shown]
.long 0xE050D000, 0x8018211B
.long 0xBE850032
.long 0x81858105
.long 0x80605A60
.long 0x82615B61
.long 0xBF008005
.long 0xBF850209
.long 0xE050D000, 0x8018681B
.long 0x81858105
.long 0x80605A60
.long 0x82615B61
.long 0xBF008005
.long 0xBF8501FF
.long 0xE050D000, 0x8018701B
.long 0x81858105
.long 0x80605A60
.long 0x82615B61
.long 0xBF008005
.long 0xBF8501F3
.long 0xE050D000, 0x8018781B
.long 0x81858105
.long 0x80605A60
.long 0x82615B61
.long 0xBF008005
.long 0xBF8501E5
.long 0xE050D000, 0x8018801B
.long 0x81858105
.long 0x80605A60
.long 0x82615B61
.long 0xBF008005
.long 0xBF8501D5
.long 0xE050D000, 0x8018881B
.long 0x81858105
.long 0x80605A60
.long 0x82615B61
.long 0xBF008005
.long 0xBF8501C3
.long 0xE050D000, 0x8018901B
.long 0x81858105
.long 0x80605A60
.long 0x82615B61
.long 0xBF008005
.long 0xBF8501AF
.long 0xE050D000, 0x8018981B
.long 0x81858105
.long 0x80605A60
.long 0x82615B61
.long 0xBF008005
.long 0xBF850199
.long 0xE050D000, 0x8018A01B
.long 0x81858105
.long 0x80605A60
.long 0x82615B61
.long 0xBF008005
.long 0xBF850181
.long 0xE050D000, 0x8018A81B
.long 0x81858105
.long 0x80605A60
.long 0x82615B61
.long 0xBF008005
.long 0xBF850167
.long 0xE050D000, 0x8018B01B
.long 0x81858105
.long 0x80605A60
.long 0x82615B61
.long 0xBF008005
.long 0xBF85014B
.long 0xE050D000, 0x8018B81B
.long 0x81858105
.long 0x80605A60
.long 0x82615B61
.long 0xBF008005
.long 0xBF85012D
.long 0xE050D000, 0x8018C01B
.long 0x81858105
.long 0x80605A60
.long 0x82615B61
.long 0xBF008005
.long 0xBF85010D
.long 0xE050D000, 0x8018C81B
.long 0x81858105
.long 0x80605A60
.long 0x82615B61
.long 0xBF008005
.long 0xBF8500EB
.long 0xE050D000, 0x8018D01B
.long 0x81858105
.long 0x80605A60
.long 0x82615B61
.long 0xBF008005
.long 0xBF8500C7
.long 0xE050D000, 0x8018D81B
.long 0xBF8C0F7E
.long 0x0242D121
.long 0x81858105
.long 0xBF05CE05
.long 0xBF8501A0
.long 0x80605A60
.long 0x82615B61
.long 0xD0C6005C, 0x00000A80
.long 0xD100003F, 0x01727D1B
.long 0xE050D000, 0x8018683F
.long 0xBF8C0F7E
.long 0x0242E121
.long 0x81858105
.long 0xBF05CE05
.long 0xBF850193
.long 0x80605A60
.long 0x82615B61
.long 0xD0C6005C, 0x00000A80
.long 0xD100003F, 0x01727D1B
.long 0xE050D000, 0x8018703F
.long 0xBF8C0F7E
.long 0x0242F121
.long 0x81858105
.long 0xBF05CE05
.long 0xBF850186
	;; [unrolled: 10-line block ×15, first 2 shown]
.long 0x0242E121
.long 0xBF8C0F7B
	;; [unrolled: 1-line block ×221, first 2 shown]
.long 0x7E7C02FF, 0x80000000
.long 0xBEE00016
.long 0xBEE10017
	;; [unrolled: 1-line block ×4, first 2 shown]
.long 0xE050D000, 0x80182822
.long 0xBE850032
.long 0x81858105
	;; [unrolled: 1-line block ×6, first 2 shown]
.long 0xE050D000, 0x80186822
.long 0x81858105
.long 0x80605A60
.long 0x82615B61
.long 0xBF008005
.long 0xBF8501FF
.long 0xE050D000, 0x80187022
.long 0x81858105
.long 0x80605A60
.long 0x82615B61
.long 0xBF008005
.long 0xBF8501F3
	;; [unrolled: 6-line block ×15, first 2 shown]
.long 0x80605A60
.long 0x82615B61
.long 0xD0C6005C, 0x00000A80
.long 0xD100003F, 0x01727D22
.long 0xE050D000, 0x8018683F
.long 0xBF8C0F7E
.long 0x0250E128
.long 0x81858105
.long 0xBF05CE05
.long 0xBF850193
.long 0x80605A60
.long 0x82615B61
.long 0xD0C6005C, 0x00000A80
.long 0xD100003F, 0x01727D22
.long 0xE050D000, 0x8018703F
.long 0xBF8C0F7E
.long 0x0250F128
.long 0x81858105
.long 0xBF05CE05
.long 0xBF850186
	;; [unrolled: 10-line block ×15, first 2 shown]
.long 0x0250E128
.long 0xBF8C0F7B
	;; [unrolled: 1-line block ×221, first 2 shown]
.long 0x7E7C02FF, 0x80000000
.long 0xBEE00016
.long 0xBEE10017
	;; [unrolled: 1-line block ×4, first 2 shown]
.long 0xE050D000, 0x80182F29
.long 0xBE850032
.long 0x81858105
	;; [unrolled: 1-line block ×6, first 2 shown]
.long 0xE050D000, 0x80186829
.long 0x81858105
.long 0x80605A60
.long 0x82615B61
.long 0xBF008005
.long 0xBF8501FF
.long 0xE050D000, 0x80187029
.long 0x81858105
.long 0x80605A60
.long 0x82615B61
.long 0xBF008005
.long 0xBF8501F3
	;; [unrolled: 6-line block ×15, first 2 shown]
.long 0x80605A60
.long 0x82615B61
.long 0xD0C6005C, 0x00000A80
.long 0xD100003F, 0x01727D29
.long 0xE050D000, 0x8018683F
.long 0xBF8C0F7E
.long 0x025EE12F
.long 0x81858105
.long 0xBF05CE05
.long 0xBF850193
.long 0x80605A60
.long 0x82615B61
.long 0xD0C6005C, 0x00000A80
.long 0xD100003F, 0x01727D29
.long 0xE050D000, 0x8018703F
.long 0xBF8C0F7E
.long 0x025EF12F
.long 0x81858105
.long 0xBF05CE05
.long 0xBF850186
	;; [unrolled: 10-line block ×15, first 2 shown]
.long 0x025EE12F
.long 0xBF8C0F7B
	;; [unrolled: 1-line block ×221, first 2 shown]
.long 0x7E7C02FF, 0x80000000
.long 0xBEE00016
.long 0xBEE10017
	;; [unrolled: 1-line block ×4, first 2 shown]
.long 0xE050D000, 0x80183630
.long 0xBE850032
.long 0x81858105
	;; [unrolled: 1-line block ×6, first 2 shown]
.long 0xE050D000, 0x80186830
.long 0x81858105
.long 0x80605A60
.long 0x82615B61
.long 0xBF008005
.long 0xBF8501FF
.long 0xE050D000, 0x80187030
.long 0x81858105
.long 0x80605A60
.long 0x82615B61
.long 0xBF008005
.long 0xBF8501F3
	;; [unrolled: 6-line block ×15, first 2 shown]
.long 0x80605A60
.long 0x82615B61
.long 0xD0C6005C, 0x00000A80
.long 0xD100003F, 0x01727D30
.long 0xE050D000, 0x8018683F
.long 0xBF8C0F7E
.long 0x026CE136
.long 0x81858105
.long 0xBF05CE05
.long 0xBF850193
.long 0x80605A60
.long 0x82615B61
.long 0xD0C6005C, 0x00000A80
.long 0xD100003F, 0x01727D30
.long 0xE050D000, 0x8018703F
.long 0xBF8C0F7E
.long 0x026CF136
.long 0x81858105
.long 0xBF05CE05
.long 0xBF850186
	;; [unrolled: 10-line block ×15, first 2 shown]
.long 0x026CE136
.long 0xBF8C0F7B
	;; [unrolled: 1-line block ×221, first 2 shown]
.long 0x7E7C02FF, 0x80000000
.long 0xBEE00016
.long 0xBEE10017
.long 0xBEE2000E
.long 0xBEE3000F
.long 0xE050D000, 0x80183D37
.long 0xBE850032
.long 0x81858105
	;; [unrolled: 1-line block ×6, first 2 shown]
.long 0xE050D000, 0x80186837
.long 0x81858105
.long 0x80605A60
.long 0x82615B61
.long 0xBF008005
.long 0xBF8501FF
.long 0xE050D000, 0x80187037
.long 0x81858105
.long 0x80605A60
.long 0x82615B61
.long 0xBF008005
.long 0xBF8501F3
	;; [unrolled: 6-line block ×15, first 2 shown]
.long 0x80605A60
.long 0x82615B61
.long 0xD0C6005C, 0x00000A80
.long 0xD100003F, 0x01727D37
.long 0xE050D000, 0x8018683F
.long 0xBF8C0F7E
.long 0x027AE13D
.long 0x81858105
.long 0xBF05CE05
.long 0xBF850193
.long 0x80605A60
.long 0x82615B61
.long 0xD0C6005C, 0x00000A80
.long 0xD100003F, 0x01727D37
.long 0xE050D000, 0x8018703F
.long 0xBF8C0F7E
.long 0x027AF13D
.long 0x81858105
.long 0xBF05CE05
.long 0xBF850186
	;; [unrolled: 10-line block ×15, first 2 shown]
.long 0x027AE13D
.long 0xBF8C0F7B
	;; [unrolled: 1-line block ×230, first 2 shown]
.long 0xD0CC0038, 0x0001004A
.long 0xD100000B, 0x00E216F2
.long 0x0A18190B
.long 0x0218190A
.long 0x0A0818FF, 0x3D372713
.long 0xD1CB0004, 0x03CA090C
.long 0x0A08090C
.long 0x0A0808FF, 0x40135761
.long 0x7E084104
.long 0xBF800000
.long 0x020808F2
.long 0x7E084504
.long 0xBF800000
.long 0xD1CB0004, 0x03D208F5
.long 0x0A08090C
.long 0x0A0808F0
.long 0x0A18083E
.long 0x7E18150C
.long 0xE068D000, 0x80140C07
.long 0xBF800000
.long 0xD0CC0038, 0x0001004A
.long 0xD1000012, 0x00E224F2
.long 0x0A262712
.long 0x02262711
.long 0x0A0826FF, 0x3D372713
.long 0xD1CB0004, 0x03CA0913
.long 0x0A080913
.long 0x0A0808FF, 0x40135761
.long 0x7E084104
.long 0xBF800000
.long 0x020808F2
.long 0x7E084504
.long 0xBF800000
.long 0xD1CB0004, 0x03D208F5
.long 0x0A080913
.long 0x0A0808F0
.long 0x0A26083E
.long 0x7E261513
.long 0xE068D000, 0x8014130E
.long 0xBF800000
	;; [unrolled: 20-line block ×8, first 2 shown]
.long 0xBF800000
.long 0xBED41C00
.long 0x815684FF, 0x00038B24
.long 0x80545654
.long 0x82558055
	;; [unrolled: 1-line block ×3, first 2 shown]
.long 0x86541CFF, 0x0000007F
.long 0x805514C1
.long 0xBF095502
	;; [unrolled: 1-line block ×6, first 2 shown]
.long 0x815684FF, 0x0000E9E8
.long 0x80545654
.long 0x82558055
	;; [unrolled: 1-line block ×10, first 2 shown]
.long 0x815684FF, 0x0000E9B8
.long 0x80545654
.long 0x82558055
	;; [unrolled: 1-line block ×21, first 2 shown]
.long 0xD1FE0008, 0x02060102
.long 0xE05C1000, 0x80041008
	;; [unrolled: 1-line block ×4, first 2 shown]
.long 0x24121282
.long 0xBF8CC07F
	;; [unrolled: 1-line block ×3, first 2 shown]
.long 0xD9FE0000, 0x18000009
.long 0xD9FE0010, 0x1C000009
.long 0x24140082
.long 0xE05C1000, 0x8012200A
.long 0xE05C1010, 0x8012240A
	;; [unrolled: 1-line block ×12, first 2 shown]
.long 0xBF800001
.long 0xE07CD000, 0x80032806
.long 0xE07CD010, 0x80032C06
.long 0xBF800000
.long 0x92541415
	;; [unrolled: 1-line block ×16, first 2 shown]
.long 0xC2330CCC, 0x00000000
.long 0x965B811C
.long 0x925A811C
	;; [unrolled: 1-line block ×15, first 2 shown]
.long 0x7E1602FF, 0x80000000
.long 0xBEDC0016
.long 0xBEDD0017
	;; [unrolled: 1-line block ×7, first 2 shown]
.long 0xE05CD000, 0x80172806
.long 0xE05CD010, 0x80172C06
.long 0xBE850032
.long 0x81858105
	;; [unrolled: 1-line block ×6, first 2 shown]
.long 0xE05CD000, 0x80176806
.long 0xE05CD010, 0x80176C06
.long 0x81858105
.long 0x805C565C
.long 0x825D575D
.long 0xBF008005
.long 0xBF85057A
.long 0xE05CD000, 0x80177006
.long 0xE05CD010, 0x80177406
.long 0x81858105
.long 0x805C565C
.long 0x825D575D
.long 0xBF008005
.long 0xBF85055E
	;; [unrolled: 7-line block ×14, first 2 shown]
.long 0xE05CD000, 0x8017D806
.long 0xE05CD010, 0x8017DC06
.long 0xBF8C0F7E
.long 0xD3B24028, 0x1802D128
.long 0xD3B2402A, 0x1802D52A
.long 0xD3B2402C, 0x1802D92C
.long 0xD3B2402E, 0x1802DD2E
.long 0x81858105
.long 0xBF05CE05
.long 0xBF8504FF
.long 0x805C565C
.long 0x825D575D
.long 0xD0C60058, 0x00000A80
.long 0xD100000C, 0x01621706
.long 0xE05CD000, 0x8017680C
.long 0xE05CD010, 0x80176C0C
.long 0xBF8C0F7E
.long 0xD3B24028, 0x1802E128
.long 0xD3B2402A, 0x1802E52A
.long 0xD3B2402C, 0x1802E92C
.long 0xD3B2402E, 0x1802ED2E
.long 0x81858105
.long 0xBF05CE05
.long 0xBF8504E9
.long 0x805C565C
.long 0x825D575D
.long 0xD0C60058, 0x00000A80
.long 0xD100000C, 0x01621706
	;; [unrolled: 14-line block ×15, first 2 shown]
.long 0xE05CD000, 0x8017D80C
.long 0xE05CD010, 0x8017DC0C
.long 0xBF02CE05
.long 0xBF85FEB4
	;; [unrolled: 1-line block ×3, first 2 shown]
.long 0xD3B24028, 0x1802D128
.long 0xD3B2402A, 0x1802D52A
.long 0xD3B2402C, 0x1802D92C
.long 0xD3B2402E, 0x1802DD2E
.long 0xBF8C0F7C
.long 0xD3B24028, 0x1802E128
.long 0xD3B2402A, 0x1802E52A
.long 0xD3B2402C, 0x1802E92C
.long 0xD3B2402E, 0x1802ED2E
.long 0xBF8C0F7B
	;; [unrolled: 5-line block ×14, first 2 shown]
.long 0xBF8C0F7C
.long 0xD3B24028, 0x1802D128
.long 0xD3B2402A, 0x1802D52A
.long 0xD3B2402C, 0x1802D92C
.long 0xD3B2402E, 0x1802DD2E
.long 0xBF8C0F7B
.long 0xD3B24028, 0x1802E128
.long 0xD3B2402A, 0x1802E52A
.long 0xD3B2402C, 0x1802E92C
.long 0xD3B2402E, 0x1802ED2E
	;; [unrolled: 5-line block ×13, first 2 shown]
.long 0xBF8202CA
.long 0xBF8C0F7B
.long 0xD3B24028, 0x1802D128
.long 0xD3B2402A, 0x1802D52A
.long 0xD3B2402C, 0x1802D92C
.long 0xD3B2402E, 0x1802DD2E
.long 0xBF8C0F7A
.long 0xD3B24028, 0x1802E128
.long 0xD3B2402A, 0x1802E52A
.long 0xD3B2402C, 0x1802E92C
.long 0xD3B2402E, 0x1802ED2E
	;; [unrolled: 5-line block ×12, first 2 shown]
.long 0xBF82025D
.long 0xBF8C0F7A
.long 0xD3B24028, 0x1802D128
.long 0xD3B2402A, 0x1802D52A
.long 0xD3B2402C, 0x1802D92C
.long 0xD3B2402E, 0x1802DD2E
.long 0xBF8C0F79
.long 0xD3B24028, 0x1802E128
.long 0xD3B2402A, 0x1802E52A
.long 0xD3B2402C, 0x1802E92C
.long 0xD3B2402E, 0x1802ED2E
	;; [unrolled: 5-line block ×11, first 2 shown]
.long 0xBF8201F9
.long 0xBF8C0F79
.long 0xD3B24028, 0x1802D128
.long 0xD3B2402A, 0x1802D52A
.long 0xD3B2402C, 0x1802D92C
.long 0xD3B2402E, 0x1802DD2E
.long 0xBF8C0F78
.long 0xD3B24028, 0x1802E128
.long 0xD3B2402A, 0x1802E52A
.long 0xD3B2402C, 0x1802E92C
.long 0xD3B2402E, 0x1802ED2E
	;; [unrolled: 5-line block ×10, first 2 shown]
.long 0xBF82019E
.long 0xBF8C0F78
.long 0xD3B24028, 0x1802D128
.long 0xD3B2402A, 0x1802D52A
.long 0xD3B2402C, 0x1802D92C
.long 0xD3B2402E, 0x1802DD2E
.long 0xBF8C0F77
.long 0xD3B24028, 0x1802E128
.long 0xD3B2402A, 0x1802E52A
.long 0xD3B2402C, 0x1802E92C
.long 0xD3B2402E, 0x1802ED2E
	;; [unrolled: 5-line block ×9, first 2 shown]
.long 0xBF82014C
.long 0xBF8C0F77
.long 0xD3B24028, 0x1802D128
.long 0xD3B2402A, 0x1802D52A
.long 0xD3B2402C, 0x1802D92C
.long 0xD3B2402E, 0x1802DD2E
.long 0xBF8C0F76
.long 0xD3B24028, 0x1802E128
.long 0xD3B2402A, 0x1802E52A
.long 0xD3B2402C, 0x1802E92C
.long 0xD3B2402E, 0x1802ED2E
	;; [unrolled: 5-line block ×8, first 2 shown]
.long 0xBF820103
.long 0xBF8C0F76
.long 0xD3B24028, 0x1802D128
.long 0xD3B2402A, 0x1802D52A
.long 0xD3B2402C, 0x1802D92C
.long 0xD3B2402E, 0x1802DD2E
.long 0xBF8C0F75
.long 0xD3B24028, 0x1802E128
.long 0xD3B2402A, 0x1802E52A
.long 0xD3B2402C, 0x1802E92C
.long 0xD3B2402E, 0x1802ED2E
	;; [unrolled: 5-line block ×7, first 2 shown]
.long 0xBF8200C3
.long 0xBF8C0F75
.long 0xD3B24028, 0x1802D128
.long 0xD3B2402A, 0x1802D52A
.long 0xD3B2402C, 0x1802D92C
.long 0xD3B2402E, 0x1802DD2E
.long 0xBF8C0F74
.long 0xD3B24028, 0x1802E128
.long 0xD3B2402A, 0x1802E52A
.long 0xD3B2402C, 0x1802E92C
.long 0xD3B2402E, 0x1802ED2E
	;; [unrolled: 5-line block ×6, first 2 shown]
.long 0xBF82008C
.long 0xBF8C0F74
.long 0xD3B24028, 0x1802D128
.long 0xD3B2402A, 0x1802D52A
.long 0xD3B2402C, 0x1802D92C
.long 0xD3B2402E, 0x1802DD2E
.long 0xBF8C0F73
.long 0xD3B24028, 0x1802E128
.long 0xD3B2402A, 0x1802E52A
.long 0xD3B2402C, 0x1802E92C
.long 0xD3B2402E, 0x1802ED2E
	;; [unrolled: 5-line block ×5, first 2 shown]
.long 0xBF82005E
.long 0xBF8C0F73
.long 0xD3B24028, 0x1802D128
.long 0xD3B2402A, 0x1802D52A
.long 0xD3B2402C, 0x1802D92C
.long 0xD3B2402E, 0x1802DD2E
.long 0xBF8C0F72
.long 0xD3B24028, 0x1802E128
.long 0xD3B2402A, 0x1802E52A
.long 0xD3B2402C, 0x1802E92C
.long 0xD3B2402E, 0x1802ED2E
.long 0xBF8C0F71
.long 0xD3B24028, 0x1802F128
.long 0xD3B2402A, 0x1802F52A
.long 0xD3B2402C, 0x1802F92C
.long 0xD3B2402E, 0x1802FD2E
.long 0xBF8C0F70
.long 0xD3B24028, 0x18030128
.long 0xD3B2402A, 0x1803052A
.long 0xD3B2402C, 0x1803092C
.long 0xD3B2402E, 0x18030D2E
.long 0xBF820039
.long 0xBF8C0F72
.long 0xD3B24028, 0x1802D128
.long 0xD3B2402A, 0x1802D52A
.long 0xD3B2402C, 0x1802D92C
.long 0xD3B2402E, 0x1802DD2E
.long 0xBF8C0F71
.long 0xD3B24028, 0x1802E128
.long 0xD3B2402A, 0x1802E52A
.long 0xD3B2402C, 0x1802E92C
.long 0xD3B2402E, 0x1802ED2E
	;; [unrolled: 5-line block ×3, first 2 shown]
.long 0xBF82001D
.long 0xBF8C0F71
.long 0xD3B24028, 0x1802D128
.long 0xD3B2402A, 0x1802D52A
	;; [unrolled: 1-line block ×4, first 2 shown]
.long 0xBF8C0F70
.long 0xD3B24028, 0x1802E128
.long 0xD3B2402A, 0x1802E52A
	;; [unrolled: 1-line block ×4, first 2 shown]
.long 0xBF82000A
.long 0xBF8C0F70
.long 0xD3B24028, 0x1802D128
.long 0xD3B2402A, 0x1802D52A
	;; [unrolled: 1-line block ×4, first 2 shown]
.long 0xBF820000
.long 0x0A505030
	;; [unrolled: 1-line block ×9, first 2 shown]
.long 0xD0CC0038, 0x0001004A
.long 0xD1000020, 0x00E240F2
	;; [unrolled: 1-line block ×28, first 2 shown]
.long 0x7E501528
.long 0x7E521529
.long 0xD2A00028, 0x00025328
.long 0x7E54152A
.long 0x7E56152B
.long 0xD2A00029, 0x0002572A
.long 0x7E58152C
.long 0x7E5A152D
.long 0xD2A0002A, 0x00025B2C
.long 0x7E5C152E
.long 0x7E5E152F
.long 0xD2A0002B, 0x00025F2E
.long 0xE07CD000, 0x80142807
.long 0xBF800000
.long 0xBF800000
	;; [unrolled: 1-line block ×3, first 2 shown]
.long 0xD1FE0008, 0x02060102
.long 0xE05C1000, 0x80041008
	;; [unrolled: 1-line block ×4, first 2 shown]
.long 0x24121282
.long 0xBF8CC07F
	;; [unrolled: 1-line block ×3, first 2 shown]
.long 0xD9FE0000, 0x18000009
.long 0xD9FE0010, 0x1C000009
.long 0x24140082
.long 0xE05C1000, 0x8012200A
.long 0xE05C1010, 0x8012240A
.long 0xD1FE0006, 0x020A0103
.long 0xD1FE0007, 0x02060103
.long 0xD3D84028, 0x18000100
.long 0xD3D84029, 0x18000104
.long 0xD3D8402A, 0x18000101
.long 0xD3D8402B, 0x18000105
.long 0xD3D8402C, 0x18000102
.long 0xD3D8402D, 0x18000106
.long 0xD3D8402E, 0x18000103
.long 0xD3D8402F, 0x18000107
.long 0xBF800001
.long 0xE07CD000, 0x80032806
.long 0xE07CD010, 0x80032C06
.long 0xBF800000
.long 0x92541415
	;; [unrolled: 1-line block ×16, first 2 shown]
.long 0xC2330CCC, 0x00000000
.long 0x965B811C
.long 0x925A811C
	;; [unrolled: 1-line block ×15, first 2 shown]
.long 0x7E1602FF, 0x80000000
.long 0xBEDC0016
.long 0xBEDD0017
.long 0xBEDE000E
.long 0xBEDF000F
.long 0xBF8CC07F
.long 0xBF068133
.long 0xBF8405FA
.long 0xE05CD000, 0x80172806
.long 0xE05CD010, 0x80172C06
.long 0xBE850032
.long 0x81858105
	;; [unrolled: 1-line block ×6, first 2 shown]
.long 0xE05CD000, 0x80176806
.long 0xE05CD010, 0x80176C06
.long 0x81858105
.long 0x805C565C
.long 0x825D575D
.long 0xBF008005
.long 0xBF85057A
.long 0xE05CD000, 0x80177006
.long 0xE05CD010, 0x80177406
.long 0x81858105
.long 0x805C565C
.long 0x825D575D
.long 0xBF008005
.long 0xBF85055E
	;; [unrolled: 7-line block ×14, first 2 shown]
.long 0xE05CD000, 0x8017D806
.long 0xE05CD010, 0x8017DC06
.long 0xBF8C0F7E
.long 0xD3B24028, 0x1802D128
.long 0xD3B2402A, 0x1802D52A
.long 0xD3B2402C, 0x1802D92C
.long 0xD3B2402E, 0x1802DD2E
.long 0x81858105
.long 0xBF05CE05
.long 0xBF8504FF
.long 0x805C565C
.long 0x825D575D
.long 0xD0C60058, 0x00000A80
.long 0xD100000C, 0x01621706
.long 0xE05CD000, 0x8017680C
.long 0xE05CD010, 0x80176C0C
.long 0xBF8C0F7E
.long 0xD3B24028, 0x1802E128
.long 0xD3B2402A, 0x1802E52A
.long 0xD3B2402C, 0x1802E92C
.long 0xD3B2402E, 0x1802ED2E
.long 0x81858105
.long 0xBF05CE05
.long 0xBF8504E9
.long 0x805C565C
.long 0x825D575D
.long 0xD0C60058, 0x00000A80
.long 0xD100000C, 0x01621706
	;; [unrolled: 14-line block ×15, first 2 shown]
.long 0xE05CD000, 0x8017D80C
.long 0xE05CD010, 0x8017DC0C
.long 0xBF02CE05
.long 0xBF85FEB4
	;; [unrolled: 1-line block ×3, first 2 shown]
.long 0xD3B24028, 0x1802D128
.long 0xD3B2402A, 0x1802D52A
.long 0xD3B2402C, 0x1802D92C
.long 0xD3B2402E, 0x1802DD2E
.long 0xBF8C0F7C
.long 0xD3B24028, 0x1802E128
.long 0xD3B2402A, 0x1802E52A
.long 0xD3B2402C, 0x1802E92C
.long 0xD3B2402E, 0x1802ED2E
.long 0xBF8C0F7B
	;; [unrolled: 5-line block ×14, first 2 shown]
.long 0xBF8C0F7C
.long 0xD3B24028, 0x1802D128
.long 0xD3B2402A, 0x1802D52A
.long 0xD3B2402C, 0x1802D92C
.long 0xD3B2402E, 0x1802DD2E
.long 0xBF8C0F7B
.long 0xD3B24028, 0x1802E128
.long 0xD3B2402A, 0x1802E52A
.long 0xD3B2402C, 0x1802E92C
.long 0xD3B2402E, 0x1802ED2E
	;; [unrolled: 5-line block ×13, first 2 shown]
.long 0xBF8202CA
.long 0xBF8C0F7B
.long 0xD3B24028, 0x1802D128
.long 0xD3B2402A, 0x1802D52A
.long 0xD3B2402C, 0x1802D92C
.long 0xD3B2402E, 0x1802DD2E
.long 0xBF8C0F7A
.long 0xD3B24028, 0x1802E128
.long 0xD3B2402A, 0x1802E52A
.long 0xD3B2402C, 0x1802E92C
.long 0xD3B2402E, 0x1802ED2E
	;; [unrolled: 5-line block ×12, first 2 shown]
.long 0xBF82025D
.long 0xBF8C0F7A
.long 0xD3B24028, 0x1802D128
.long 0xD3B2402A, 0x1802D52A
.long 0xD3B2402C, 0x1802D92C
.long 0xD3B2402E, 0x1802DD2E
.long 0xBF8C0F79
.long 0xD3B24028, 0x1802E128
.long 0xD3B2402A, 0x1802E52A
.long 0xD3B2402C, 0x1802E92C
.long 0xD3B2402E, 0x1802ED2E
	;; [unrolled: 5-line block ×11, first 2 shown]
.long 0xBF8201F9
.long 0xBF8C0F79
.long 0xD3B24028, 0x1802D128
.long 0xD3B2402A, 0x1802D52A
.long 0xD3B2402C, 0x1802D92C
.long 0xD3B2402E, 0x1802DD2E
.long 0xBF8C0F78
.long 0xD3B24028, 0x1802E128
.long 0xD3B2402A, 0x1802E52A
.long 0xD3B2402C, 0x1802E92C
.long 0xD3B2402E, 0x1802ED2E
	;; [unrolled: 5-line block ×10, first 2 shown]
.long 0xBF82019E
.long 0xBF8C0F78
.long 0xD3B24028, 0x1802D128
.long 0xD3B2402A, 0x1802D52A
.long 0xD3B2402C, 0x1802D92C
.long 0xD3B2402E, 0x1802DD2E
.long 0xBF8C0F77
.long 0xD3B24028, 0x1802E128
.long 0xD3B2402A, 0x1802E52A
.long 0xD3B2402C, 0x1802E92C
.long 0xD3B2402E, 0x1802ED2E
	;; [unrolled: 5-line block ×9, first 2 shown]
.long 0xBF82014C
.long 0xBF8C0F77
.long 0xD3B24028, 0x1802D128
.long 0xD3B2402A, 0x1802D52A
.long 0xD3B2402C, 0x1802D92C
.long 0xD3B2402E, 0x1802DD2E
.long 0xBF8C0F76
.long 0xD3B24028, 0x1802E128
.long 0xD3B2402A, 0x1802E52A
.long 0xD3B2402C, 0x1802E92C
.long 0xD3B2402E, 0x1802ED2E
	;; [unrolled: 5-line block ×8, first 2 shown]
.long 0xBF820103
.long 0xBF8C0F76
.long 0xD3B24028, 0x1802D128
.long 0xD3B2402A, 0x1802D52A
.long 0xD3B2402C, 0x1802D92C
.long 0xD3B2402E, 0x1802DD2E
.long 0xBF8C0F75
.long 0xD3B24028, 0x1802E128
.long 0xD3B2402A, 0x1802E52A
.long 0xD3B2402C, 0x1802E92C
.long 0xD3B2402E, 0x1802ED2E
	;; [unrolled: 5-line block ×7, first 2 shown]
.long 0xBF8200C3
.long 0xBF8C0F75
.long 0xD3B24028, 0x1802D128
.long 0xD3B2402A, 0x1802D52A
.long 0xD3B2402C, 0x1802D92C
.long 0xD3B2402E, 0x1802DD2E
.long 0xBF8C0F74
.long 0xD3B24028, 0x1802E128
.long 0xD3B2402A, 0x1802E52A
.long 0xD3B2402C, 0x1802E92C
.long 0xD3B2402E, 0x1802ED2E
	;; [unrolled: 5-line block ×6, first 2 shown]
.long 0xBF82008C
.long 0xBF8C0F74
.long 0xD3B24028, 0x1802D128
.long 0xD3B2402A, 0x1802D52A
.long 0xD3B2402C, 0x1802D92C
.long 0xD3B2402E, 0x1802DD2E
.long 0xBF8C0F73
.long 0xD3B24028, 0x1802E128
.long 0xD3B2402A, 0x1802E52A
.long 0xD3B2402C, 0x1802E92C
.long 0xD3B2402E, 0x1802ED2E
	;; [unrolled: 5-line block ×5, first 2 shown]
.long 0xBF82005E
.long 0xBF8C0F73
.long 0xD3B24028, 0x1802D128
.long 0xD3B2402A, 0x1802D52A
.long 0xD3B2402C, 0x1802D92C
.long 0xD3B2402E, 0x1802DD2E
.long 0xBF8C0F72
.long 0xD3B24028, 0x1802E128
.long 0xD3B2402A, 0x1802E52A
.long 0xD3B2402C, 0x1802E92C
.long 0xD3B2402E, 0x1802ED2E
	;; [unrolled: 5-line block ×4, first 2 shown]
.long 0xBF820039
.long 0xBF8C0F72
.long 0xD3B24028, 0x1802D128
.long 0xD3B2402A, 0x1802D52A
.long 0xD3B2402C, 0x1802D92C
.long 0xD3B2402E, 0x1802DD2E
.long 0xBF8C0F71
.long 0xD3B24028, 0x1802E128
.long 0xD3B2402A, 0x1802E52A
.long 0xD3B2402C, 0x1802E92C
.long 0xD3B2402E, 0x1802ED2E
.long 0xBF8C0F70
.long 0xD3B24028, 0x1802F128
.long 0xD3B2402A, 0x1802F52A
.long 0xD3B2402C, 0x1802F92C
.long 0xD3B2402E, 0x1802FD2E
.long 0xBF82001D
.long 0xBF8C0F71
.long 0xD3B24028, 0x1802D128
.long 0xD3B2402A, 0x1802D52A
.long 0xD3B2402C, 0x1802D92C
.long 0xD3B2402E, 0x1802DD2E
.long 0xBF8C0F70
.long 0xD3B24028, 0x1802E128
.long 0xD3B2402A, 0x1802E52A
	;; [unrolled: 1-line block ×4, first 2 shown]
.long 0xBF82000A
.long 0xBF8C0F70
.long 0xD3B24028, 0x1802D128
.long 0xD3B2402A, 0x1802D52A
	;; [unrolled: 1-line block ×4, first 2 shown]
.long 0xBF820000
.long 0x0A505030
	;; [unrolled: 1-line block ×9, first 2 shown]
.long 0xD0CC0038, 0x0001004A
.long 0xD1000020, 0x00E240F2
	;; [unrolled: 1-line block ×36, first 2 shown]
.long 0x7E501528
.long 0x7E521529
.long 0xD2A00028, 0x00025328
.long 0x7E54152A
.long 0x7E56152B
.long 0xD2A00029, 0x0002572A
.long 0x7E58152C
.long 0x7E5A152D
.long 0xD2A0002A, 0x00025B2C
.long 0x7E5C152E
.long 0x7E5E152F
.long 0xD2A0002B, 0x00025F2E
.long 0xE07CD000, 0x80142807
.long 0xBF800000
.long 0xBF800000
.long 0xBF822DBC
.long 0xD1FE0008, 0x02060102
.long 0xE05C1000, 0x80041008
	;; [unrolled: 1-line block ×4, first 2 shown]
.long 0x24121282
.long 0xBF8CC07F
	;; [unrolled: 1-line block ×3, first 2 shown]
.long 0xD9FE0000, 0x18000009
.long 0xD9FE0010, 0x1C000009
.long 0x24140082
.long 0xE05C1000, 0x8012200A
.long 0xE05C1010, 0x8012240A
.long 0xD1FE0006, 0x020A0103
.long 0xD1FE0007, 0x02060103
.long 0xD3D84028, 0x18000100
.long 0xD3D84029, 0x18000104
.long 0xD3D8402A, 0x18000101
.long 0xD3D8402B, 0x18000105
.long 0xD3D8402C, 0x18000102
.long 0xD3D8402D, 0x18000106
.long 0xD3D8402E, 0x18000103
.long 0xD3D8402F, 0x18000107
.long 0xBF800001
.long 0xE07CD000, 0x80032806
.long 0xE07CD010, 0x80032C06
.long 0xBF800000
.long 0x92541415
	;; [unrolled: 1-line block ×16, first 2 shown]
.long 0xC2330CCC, 0x00000000
.long 0x965B811C
.long 0x925A811C
	;; [unrolled: 1-line block ×15, first 2 shown]
.long 0x7E1602FF, 0x80000000
.long 0xBEDC0016
.long 0xBEDD0017
	;; [unrolled: 1-line block ×7, first 2 shown]
.long 0xE05CD000, 0x80172806
.long 0xE05CD010, 0x80172C06
.long 0xBE850032
.long 0x81858105
	;; [unrolled: 1-line block ×6, first 2 shown]
.long 0xE05CD000, 0x80176806
.long 0xE05CD010, 0x80176C06
.long 0x81858105
.long 0x805C565C
.long 0x825D575D
.long 0xBF008005
.long 0xBF85057A
.long 0xE05CD000, 0x80177006
.long 0xE05CD010, 0x80177406
.long 0x81858105
.long 0x805C565C
.long 0x825D575D
.long 0xBF008005
.long 0xBF85055E
	;; [unrolled: 7-line block ×14, first 2 shown]
.long 0xE05CD000, 0x8017D806
.long 0xE05CD010, 0x8017DC06
.long 0xBF8C0F7E
.long 0xD3B24028, 0x1802D128
.long 0xD3B2402A, 0x1802D52A
.long 0xD3B2402C, 0x1802D92C
.long 0xD3B2402E, 0x1802DD2E
.long 0x81858105
.long 0xBF05CE05
.long 0xBF8504FF
.long 0x805C565C
.long 0x825D575D
.long 0xD0C60058, 0x00000A80
.long 0xD100000C, 0x01621706
.long 0xE05CD000, 0x8017680C
.long 0xE05CD010, 0x80176C0C
.long 0xBF8C0F7E
.long 0xD3B24028, 0x1802E128
.long 0xD3B2402A, 0x1802E52A
.long 0xD3B2402C, 0x1802E92C
.long 0xD3B2402E, 0x1802ED2E
.long 0x81858105
.long 0xBF05CE05
.long 0xBF8504E9
.long 0x805C565C
.long 0x825D575D
.long 0xD0C60058, 0x00000A80
.long 0xD100000C, 0x01621706
	;; [unrolled: 14-line block ×15, first 2 shown]
.long 0xE05CD000, 0x8017D80C
.long 0xE05CD010, 0x8017DC0C
.long 0xBF02CE05
.long 0xBF85FEB4
	;; [unrolled: 1-line block ×3, first 2 shown]
.long 0xD3B24028, 0x1802D128
.long 0xD3B2402A, 0x1802D52A
.long 0xD3B2402C, 0x1802D92C
.long 0xD3B2402E, 0x1802DD2E
.long 0xBF8C0F7C
.long 0xD3B24028, 0x1802E128
.long 0xD3B2402A, 0x1802E52A
.long 0xD3B2402C, 0x1802E92C
.long 0xD3B2402E, 0x1802ED2E
.long 0xBF8C0F7B
	;; [unrolled: 5-line block ×14, first 2 shown]
.long 0xBF8C0F7C
.long 0xD3B24028, 0x1802D128
.long 0xD3B2402A, 0x1802D52A
.long 0xD3B2402C, 0x1802D92C
.long 0xD3B2402E, 0x1802DD2E
.long 0xBF8C0F7B
.long 0xD3B24028, 0x1802E128
.long 0xD3B2402A, 0x1802E52A
.long 0xD3B2402C, 0x1802E92C
.long 0xD3B2402E, 0x1802ED2E
	;; [unrolled: 5-line block ×13, first 2 shown]
.long 0xBF8202CA
.long 0xBF8C0F7B
.long 0xD3B24028, 0x1802D128
.long 0xD3B2402A, 0x1802D52A
.long 0xD3B2402C, 0x1802D92C
.long 0xD3B2402E, 0x1802DD2E
.long 0xBF8C0F7A
.long 0xD3B24028, 0x1802E128
.long 0xD3B2402A, 0x1802E52A
.long 0xD3B2402C, 0x1802E92C
.long 0xD3B2402E, 0x1802ED2E
	;; [unrolled: 5-line block ×12, first 2 shown]
.long 0xBF82025D
.long 0xBF8C0F7A
.long 0xD3B24028, 0x1802D128
.long 0xD3B2402A, 0x1802D52A
.long 0xD3B2402C, 0x1802D92C
.long 0xD3B2402E, 0x1802DD2E
.long 0xBF8C0F79
.long 0xD3B24028, 0x1802E128
.long 0xD3B2402A, 0x1802E52A
.long 0xD3B2402C, 0x1802E92C
.long 0xD3B2402E, 0x1802ED2E
	;; [unrolled: 5-line block ×11, first 2 shown]
.long 0xBF8201F9
.long 0xBF8C0F79
.long 0xD3B24028, 0x1802D128
.long 0xD3B2402A, 0x1802D52A
.long 0xD3B2402C, 0x1802D92C
.long 0xD3B2402E, 0x1802DD2E
.long 0xBF8C0F78
.long 0xD3B24028, 0x1802E128
.long 0xD3B2402A, 0x1802E52A
.long 0xD3B2402C, 0x1802E92C
.long 0xD3B2402E, 0x1802ED2E
	;; [unrolled: 5-line block ×10, first 2 shown]
.long 0xBF82019E
.long 0xBF8C0F78
.long 0xD3B24028, 0x1802D128
.long 0xD3B2402A, 0x1802D52A
.long 0xD3B2402C, 0x1802D92C
.long 0xD3B2402E, 0x1802DD2E
.long 0xBF8C0F77
.long 0xD3B24028, 0x1802E128
.long 0xD3B2402A, 0x1802E52A
.long 0xD3B2402C, 0x1802E92C
.long 0xD3B2402E, 0x1802ED2E
	;; [unrolled: 5-line block ×9, first 2 shown]
.long 0xBF82014C
.long 0xBF8C0F77
.long 0xD3B24028, 0x1802D128
.long 0xD3B2402A, 0x1802D52A
.long 0xD3B2402C, 0x1802D92C
.long 0xD3B2402E, 0x1802DD2E
.long 0xBF8C0F76
.long 0xD3B24028, 0x1802E128
.long 0xD3B2402A, 0x1802E52A
.long 0xD3B2402C, 0x1802E92C
.long 0xD3B2402E, 0x1802ED2E
	;; [unrolled: 5-line block ×8, first 2 shown]
.long 0xBF820103
.long 0xBF8C0F76
.long 0xD3B24028, 0x1802D128
.long 0xD3B2402A, 0x1802D52A
.long 0xD3B2402C, 0x1802D92C
.long 0xD3B2402E, 0x1802DD2E
.long 0xBF8C0F75
.long 0xD3B24028, 0x1802E128
.long 0xD3B2402A, 0x1802E52A
.long 0xD3B2402C, 0x1802E92C
.long 0xD3B2402E, 0x1802ED2E
	;; [unrolled: 5-line block ×7, first 2 shown]
.long 0xBF8200C3
.long 0xBF8C0F75
.long 0xD3B24028, 0x1802D128
.long 0xD3B2402A, 0x1802D52A
.long 0xD3B2402C, 0x1802D92C
.long 0xD3B2402E, 0x1802DD2E
.long 0xBF8C0F74
.long 0xD3B24028, 0x1802E128
.long 0xD3B2402A, 0x1802E52A
.long 0xD3B2402C, 0x1802E92C
.long 0xD3B2402E, 0x1802ED2E
	;; [unrolled: 5-line block ×6, first 2 shown]
.long 0xBF82008C
.long 0xBF8C0F74
.long 0xD3B24028, 0x1802D128
.long 0xD3B2402A, 0x1802D52A
.long 0xD3B2402C, 0x1802D92C
.long 0xD3B2402E, 0x1802DD2E
.long 0xBF8C0F73
.long 0xD3B24028, 0x1802E128
.long 0xD3B2402A, 0x1802E52A
.long 0xD3B2402C, 0x1802E92C
.long 0xD3B2402E, 0x1802ED2E
	;; [unrolled: 5-line block ×5, first 2 shown]
.long 0xBF82005E
.long 0xBF8C0F73
.long 0xD3B24028, 0x1802D128
.long 0xD3B2402A, 0x1802D52A
.long 0xD3B2402C, 0x1802D92C
.long 0xD3B2402E, 0x1802DD2E
.long 0xBF8C0F72
.long 0xD3B24028, 0x1802E128
.long 0xD3B2402A, 0x1802E52A
.long 0xD3B2402C, 0x1802E92C
.long 0xD3B2402E, 0x1802ED2E
	;; [unrolled: 5-line block ×4, first 2 shown]
.long 0xBF820039
.long 0xBF8C0F72
.long 0xD3B24028, 0x1802D128
.long 0xD3B2402A, 0x1802D52A
.long 0xD3B2402C, 0x1802D92C
.long 0xD3B2402E, 0x1802DD2E
.long 0xBF8C0F71
.long 0xD3B24028, 0x1802E128
.long 0xD3B2402A, 0x1802E52A
.long 0xD3B2402C, 0x1802E92C
.long 0xD3B2402E, 0x1802ED2E
	;; [unrolled: 5-line block ×3, first 2 shown]
.long 0xBF82001D
.long 0xBF8C0F71
.long 0xD3B24028, 0x1802D128
.long 0xD3B2402A, 0x1802D52A
	;; [unrolled: 1-line block ×4, first 2 shown]
.long 0xBF8C0F70
.long 0xD3B24028, 0x1802E128
.long 0xD3B2402A, 0x1802E52A
	;; [unrolled: 1-line block ×4, first 2 shown]
.long 0xBF82000A
.long 0xBF8C0F70
.long 0xD3B24028, 0x1802D128
.long 0xD3B2402A, 0x1802D52A
	;; [unrolled: 1-line block ×4, first 2 shown]
.long 0xBF820000
.long 0x0A505030
	;; [unrolled: 1-line block ×9, first 2 shown]
.long 0xD0CC0038, 0x0001004A
.long 0xD1000020, 0x00E240F2
	;; [unrolled: 1-line block ×29, first 2 shown]
.long 0x1450503F
.long 0x00505080
.long 0xD044006A, 0x00007D29
.long 0x1452523F
.long 0x00525280
.long 0xD044006A, 0x00007D2A
	;; [unrolled: 3-line block ×7, first 2 shown]
.long 0x145E5E3F
.long 0x005E5E80
.long 0x7E501528
.long 0x7E521529
.long 0xD2A00028, 0x00025328
.long 0x7E54152A
.long 0x7E56152B
.long 0xD2A00029, 0x0002572A
.long 0x7E58152C
.long 0x7E5A152D
	;; [unrolled: 3-line block ×3, first 2 shown]
.long 0xD2A0002B, 0x00025F2E
.long 0xE07CD000, 0x80142807
.long 0xBF800000
.long 0xBF800000
	;; [unrolled: 1-line block ×3, first 2 shown]
.long 0xD1FE0008, 0x02060102
.long 0xE05C1000, 0x80041008
	;; [unrolled: 1-line block ×4, first 2 shown]
.long 0x24121282
.long 0xBF8CC07F
	;; [unrolled: 1-line block ×3, first 2 shown]
.long 0xD9FE0000, 0x18000009
.long 0xD9FE0010, 0x1C000009
.long 0x24140082
.long 0xE05C1000, 0x8012200A
.long 0xE05C1010, 0x8012240A
	;; [unrolled: 1-line block ×12, first 2 shown]
.long 0xBF800001
.long 0xE07CD000, 0x80032806
.long 0xE07CD010, 0x80032C06
.long 0xBF800000
.long 0x92541415
	;; [unrolled: 1-line block ×16, first 2 shown]
.long 0xC2330CCC, 0x00000000
.long 0x965B811C
.long 0x925A811C
	;; [unrolled: 1-line block ×15, first 2 shown]
.long 0x7E1602FF, 0x80000000
.long 0xBEDC0016
.long 0xBEDD0017
	;; [unrolled: 1-line block ×7, first 2 shown]
.long 0xE05CD000, 0x80172806
.long 0xE05CD010, 0x80172C06
.long 0xBE850032
.long 0x81858105
	;; [unrolled: 1-line block ×6, first 2 shown]
.long 0xE05CD000, 0x80176806
.long 0xE05CD010, 0x80176C06
.long 0x81858105
.long 0x805C565C
.long 0x825D575D
.long 0xBF008005
.long 0xBF85057A
.long 0xE05CD000, 0x80177006
.long 0xE05CD010, 0x80177406
.long 0x81858105
.long 0x805C565C
.long 0x825D575D
.long 0xBF008005
.long 0xBF85055E
	;; [unrolled: 7-line block ×14, first 2 shown]
.long 0xE05CD000, 0x8017D806
.long 0xE05CD010, 0x8017DC06
.long 0xBF8C0F7E
.long 0xD3B24028, 0x1802D128
.long 0xD3B2402A, 0x1802D52A
.long 0xD3B2402C, 0x1802D92C
.long 0xD3B2402E, 0x1802DD2E
.long 0x81858105
.long 0xBF05CE05
.long 0xBF8504FF
.long 0x805C565C
.long 0x825D575D
.long 0xD0C60058, 0x00000A80
.long 0xD100000C, 0x01621706
.long 0xE05CD000, 0x8017680C
.long 0xE05CD010, 0x80176C0C
.long 0xBF8C0F7E
.long 0xD3B24028, 0x1802E128
.long 0xD3B2402A, 0x1802E52A
.long 0xD3B2402C, 0x1802E92C
.long 0xD3B2402E, 0x1802ED2E
.long 0x81858105
.long 0xBF05CE05
.long 0xBF8504E9
.long 0x805C565C
.long 0x825D575D
.long 0xD0C60058, 0x00000A80
.long 0xD100000C, 0x01621706
	;; [unrolled: 14-line block ×15, first 2 shown]
.long 0xE05CD000, 0x8017D80C
.long 0xE05CD010, 0x8017DC0C
.long 0xBF02CE05
.long 0xBF85FEB4
	;; [unrolled: 1-line block ×3, first 2 shown]
.long 0xD3B24028, 0x1802D128
.long 0xD3B2402A, 0x1802D52A
.long 0xD3B2402C, 0x1802D92C
.long 0xD3B2402E, 0x1802DD2E
.long 0xBF8C0F7C
.long 0xD3B24028, 0x1802E128
.long 0xD3B2402A, 0x1802E52A
.long 0xD3B2402C, 0x1802E92C
.long 0xD3B2402E, 0x1802ED2E
.long 0xBF8C0F7B
	;; [unrolled: 5-line block ×14, first 2 shown]
.long 0xBF8C0F7C
.long 0xD3B24028, 0x1802D128
.long 0xD3B2402A, 0x1802D52A
.long 0xD3B2402C, 0x1802D92C
.long 0xD3B2402E, 0x1802DD2E
.long 0xBF8C0F7B
.long 0xD3B24028, 0x1802E128
.long 0xD3B2402A, 0x1802E52A
.long 0xD3B2402C, 0x1802E92C
.long 0xD3B2402E, 0x1802ED2E
	;; [unrolled: 5-line block ×13, first 2 shown]
.long 0xBF8202CA
.long 0xBF8C0F7B
.long 0xD3B24028, 0x1802D128
.long 0xD3B2402A, 0x1802D52A
.long 0xD3B2402C, 0x1802D92C
.long 0xD3B2402E, 0x1802DD2E
.long 0xBF8C0F7A
.long 0xD3B24028, 0x1802E128
.long 0xD3B2402A, 0x1802E52A
.long 0xD3B2402C, 0x1802E92C
.long 0xD3B2402E, 0x1802ED2E
	;; [unrolled: 5-line block ×12, first 2 shown]
.long 0xBF82025D
.long 0xBF8C0F7A
.long 0xD3B24028, 0x1802D128
.long 0xD3B2402A, 0x1802D52A
.long 0xD3B2402C, 0x1802D92C
.long 0xD3B2402E, 0x1802DD2E
.long 0xBF8C0F79
.long 0xD3B24028, 0x1802E128
.long 0xD3B2402A, 0x1802E52A
.long 0xD3B2402C, 0x1802E92C
.long 0xD3B2402E, 0x1802ED2E
	;; [unrolled: 5-line block ×11, first 2 shown]
.long 0xBF8201F9
.long 0xBF8C0F79
.long 0xD3B24028, 0x1802D128
.long 0xD3B2402A, 0x1802D52A
.long 0xD3B2402C, 0x1802D92C
.long 0xD3B2402E, 0x1802DD2E
.long 0xBF8C0F78
.long 0xD3B24028, 0x1802E128
.long 0xD3B2402A, 0x1802E52A
.long 0xD3B2402C, 0x1802E92C
.long 0xD3B2402E, 0x1802ED2E
	;; [unrolled: 5-line block ×10, first 2 shown]
.long 0xBF82019E
.long 0xBF8C0F78
.long 0xD3B24028, 0x1802D128
.long 0xD3B2402A, 0x1802D52A
.long 0xD3B2402C, 0x1802D92C
.long 0xD3B2402E, 0x1802DD2E
.long 0xBF8C0F77
.long 0xD3B24028, 0x1802E128
.long 0xD3B2402A, 0x1802E52A
.long 0xD3B2402C, 0x1802E92C
.long 0xD3B2402E, 0x1802ED2E
	;; [unrolled: 5-line block ×9, first 2 shown]
.long 0xBF82014C
.long 0xBF8C0F77
.long 0xD3B24028, 0x1802D128
.long 0xD3B2402A, 0x1802D52A
.long 0xD3B2402C, 0x1802D92C
.long 0xD3B2402E, 0x1802DD2E
.long 0xBF8C0F76
.long 0xD3B24028, 0x1802E128
.long 0xD3B2402A, 0x1802E52A
.long 0xD3B2402C, 0x1802E92C
.long 0xD3B2402E, 0x1802ED2E
.long 0xBF8C0F75
.long 0xD3B24028, 0x1802F128
.long 0xD3B2402A, 0x1802F52A
.long 0xD3B2402C, 0x1802F92C
.long 0xD3B2402E, 0x1802FD2E
.long 0xBF8C0F74
.long 0xD3B24028, 0x18030128
.long 0xD3B2402A, 0x1803052A
.long 0xD3B2402C, 0x1803092C
.long 0xD3B2402E, 0x18030D2E
.long 0xBF8C0F73
.long 0xD3B24028, 0x18031128
.long 0xD3B2402A, 0x1803152A
.long 0xD3B2402C, 0x1803192C
.long 0xD3B2402E, 0x18031D2E
.long 0xBF8C0F72
.long 0xD3B24028, 0x18032128
.long 0xD3B2402A, 0x1803252A
.long 0xD3B2402C, 0x1803292C
.long 0xD3B2402E, 0x18032D2E
.long 0xBF8C0F71
.long 0xD3B24028, 0x18033128
.long 0xD3B2402A, 0x1803352A
.long 0xD3B2402C, 0x1803392C
.long 0xD3B2402E, 0x18033D2E
.long 0xBF8C0F70
.long 0xD3B24028, 0x18034128
.long 0xD3B2402A, 0x1803452A
.long 0xD3B2402C, 0x1803492C
.long 0xD3B2402E, 0x18034D2E
.long 0xBF820103
.long 0xBF8C0F76
.long 0xD3B24028, 0x1802D128
.long 0xD3B2402A, 0x1802D52A
.long 0xD3B2402C, 0x1802D92C
.long 0xD3B2402E, 0x1802DD2E
.long 0xBF8C0F75
.long 0xD3B24028, 0x1802E128
.long 0xD3B2402A, 0x1802E52A
.long 0xD3B2402C, 0x1802E92C
.long 0xD3B2402E, 0x1802ED2E
	;; [unrolled: 5-line block ×7, first 2 shown]
.long 0xBF8200C3
.long 0xBF8C0F75
.long 0xD3B24028, 0x1802D128
.long 0xD3B2402A, 0x1802D52A
.long 0xD3B2402C, 0x1802D92C
.long 0xD3B2402E, 0x1802DD2E
.long 0xBF8C0F74
.long 0xD3B24028, 0x1802E128
.long 0xD3B2402A, 0x1802E52A
.long 0xD3B2402C, 0x1802E92C
.long 0xD3B2402E, 0x1802ED2E
	;; [unrolled: 5-line block ×6, first 2 shown]
.long 0xBF82008C
.long 0xBF8C0F74
.long 0xD3B24028, 0x1802D128
.long 0xD3B2402A, 0x1802D52A
.long 0xD3B2402C, 0x1802D92C
.long 0xD3B2402E, 0x1802DD2E
.long 0xBF8C0F73
.long 0xD3B24028, 0x1802E128
.long 0xD3B2402A, 0x1802E52A
.long 0xD3B2402C, 0x1802E92C
.long 0xD3B2402E, 0x1802ED2E
	;; [unrolled: 5-line block ×5, first 2 shown]
.long 0xBF82005E
.long 0xBF8C0F73
.long 0xD3B24028, 0x1802D128
.long 0xD3B2402A, 0x1802D52A
.long 0xD3B2402C, 0x1802D92C
.long 0xD3B2402E, 0x1802DD2E
.long 0xBF8C0F72
.long 0xD3B24028, 0x1802E128
.long 0xD3B2402A, 0x1802E52A
.long 0xD3B2402C, 0x1802E92C
.long 0xD3B2402E, 0x1802ED2E
	;; [unrolled: 5-line block ×4, first 2 shown]
.long 0xBF820039
.long 0xBF8C0F72
.long 0xD3B24028, 0x1802D128
.long 0xD3B2402A, 0x1802D52A
.long 0xD3B2402C, 0x1802D92C
.long 0xD3B2402E, 0x1802DD2E
.long 0xBF8C0F71
.long 0xD3B24028, 0x1802E128
.long 0xD3B2402A, 0x1802E52A
.long 0xD3B2402C, 0x1802E92C
.long 0xD3B2402E, 0x1802ED2E
	;; [unrolled: 5-line block ×3, first 2 shown]
.long 0xBF82001D
.long 0xBF8C0F71
.long 0xD3B24028, 0x1802D128
.long 0xD3B2402A, 0x1802D52A
	;; [unrolled: 1-line block ×4, first 2 shown]
.long 0xBF8C0F70
.long 0xD3B24028, 0x1802E128
.long 0xD3B2402A, 0x1802E52A
	;; [unrolled: 1-line block ×4, first 2 shown]
.long 0xBF82000A
.long 0xBF8C0F70
.long 0xD3B24028, 0x1802D128
.long 0xD3B2402A, 0x1802D52A
	;; [unrolled: 1-line block ×4, first 2 shown]
.long 0xBF820000
.long 0x0A505030
	;; [unrolled: 1-line block ×9, first 2 shown]
.long 0xD0CC0038, 0x0001004A
.long 0xD1000020, 0x00E240F2
	;; [unrolled: 1-line block ×30, first 2 shown]
.long 0x0A080928
.long 0x0A0808FF, 0x40135761
.long 0x7E084104
.long 0xBF800000
.long 0x020808F2
.long 0x7E084504
.long 0xBF800000
.long 0xD1CB0004, 0x03D208F5
.long 0x0A080928
.long 0x0A5008F0
.long 0x0A0852FF, 0x3D372713
.long 0xD1CB0004, 0x03CA0929
.long 0x0A080929
.long 0x0A0808FF, 0x40135761
.long 0x7E084104
.long 0xBF800000
.long 0x020808F2
.long 0x7E084504
.long 0xBF800000
.long 0xD1CB0004, 0x03D208F5
.long 0x0A080929
.long 0x0A5208F0
.long 0x0A0854FF, 0x3D372713
.long 0xD1CB0004, 0x03CA092A
	;; [unrolled: 12-line block ×7, first 2 shown]
.long 0x0A08092F
.long 0x0A0808FF, 0x40135761
.long 0x7E084104
.long 0xBF800000
	;; [unrolled: 1-line block ×5, first 2 shown]
.long 0xD1CB0004, 0x03D208F5
.long 0x0A08092F
.long 0x0A5E08F0
	;; [unrolled: 1-line block ×4, first 2 shown]
.long 0xD2A00028, 0x00025328
.long 0x7E54152A
.long 0x7E56152B
.long 0xD2A00029, 0x0002572A
.long 0x7E58152C
.long 0x7E5A152D
	;; [unrolled: 3-line block ×3, first 2 shown]
.long 0xD2A0002B, 0x00025F2E
.long 0xE07CD000, 0x80142807
.long 0xBF800000
.long 0xBF800000
	;; [unrolled: 1-line block ×3, first 2 shown]
.long 0xD1FE0008, 0x02060102
.long 0xE05C1000, 0x80041008
	;; [unrolled: 1-line block ×4, first 2 shown]
.long 0x24121282
.long 0xBF8CC07F
	;; [unrolled: 1-line block ×3, first 2 shown]
.long 0xD9FE0000, 0x18000009
.long 0xD9FE0010, 0x1C000009
.long 0x24140082
.long 0xE05C1000, 0x8012200A
.long 0xE05C1010, 0x8012240A
	;; [unrolled: 1-line block ×12, first 2 shown]
.long 0xBF800001
.long 0xE07CD000, 0x80032806
.long 0xE07CD010, 0x80032C06
.long 0xBF800000
.long 0x92541415
	;; [unrolled: 1-line block ×16, first 2 shown]
.long 0xC2330CCC, 0x00000000
.long 0x965B811C
.long 0x925A811C
	;; [unrolled: 1-line block ×15, first 2 shown]
.long 0x7E1602FF, 0x80000000
.long 0xBEDC0016
.long 0xBEDD0017
	;; [unrolled: 1-line block ×7, first 2 shown]
.long 0xE05CD000, 0x80172806
.long 0xE05CD010, 0x80172C06
.long 0xBE850032
.long 0x81858105
	;; [unrolled: 1-line block ×6, first 2 shown]
.long 0xE05CD000, 0x80176806
.long 0xE05CD010, 0x80176C06
.long 0x81858105
.long 0x805C565C
.long 0x825D575D
.long 0xBF008005
.long 0xBF85057A
.long 0xE05CD000, 0x80177006
.long 0xE05CD010, 0x80177406
.long 0x81858105
.long 0x805C565C
.long 0x825D575D
.long 0xBF008005
.long 0xBF85055E
	;; [unrolled: 7-line block ×14, first 2 shown]
.long 0xE05CD000, 0x8017D806
.long 0xE05CD010, 0x8017DC06
.long 0xBF8C0F7E
.long 0xD3B24028, 0x1802D128
.long 0xD3B2402A, 0x1802D52A
.long 0xD3B2402C, 0x1802D92C
.long 0xD3B2402E, 0x1802DD2E
.long 0x81858105
.long 0xBF05CE05
.long 0xBF8504FF
.long 0x805C565C
.long 0x825D575D
.long 0xD0C60058, 0x00000A80
.long 0xD100000C, 0x01621706
.long 0xE05CD000, 0x8017680C
.long 0xE05CD010, 0x80176C0C
.long 0xBF8C0F7E
.long 0xD3B24028, 0x1802E128
.long 0xD3B2402A, 0x1802E52A
.long 0xD3B2402C, 0x1802E92C
.long 0xD3B2402E, 0x1802ED2E
.long 0x81858105
.long 0xBF05CE05
.long 0xBF8504E9
.long 0x805C565C
.long 0x825D575D
.long 0xD0C60058, 0x00000A80
.long 0xD100000C, 0x01621706
	;; [unrolled: 14-line block ×15, first 2 shown]
.long 0xE05CD000, 0x8017D80C
.long 0xE05CD010, 0x8017DC0C
.long 0xBF02CE05
.long 0xBF85FEB4
	;; [unrolled: 1-line block ×3, first 2 shown]
.long 0xD3B24028, 0x1802D128
.long 0xD3B2402A, 0x1802D52A
.long 0xD3B2402C, 0x1802D92C
.long 0xD3B2402E, 0x1802DD2E
.long 0xBF8C0F7C
.long 0xD3B24028, 0x1802E128
.long 0xD3B2402A, 0x1802E52A
.long 0xD3B2402C, 0x1802E92C
.long 0xD3B2402E, 0x1802ED2E
.long 0xBF8C0F7B
	;; [unrolled: 5-line block ×14, first 2 shown]
.long 0xBF8C0F7C
.long 0xD3B24028, 0x1802D128
.long 0xD3B2402A, 0x1802D52A
.long 0xD3B2402C, 0x1802D92C
.long 0xD3B2402E, 0x1802DD2E
.long 0xBF8C0F7B
.long 0xD3B24028, 0x1802E128
.long 0xD3B2402A, 0x1802E52A
.long 0xD3B2402C, 0x1802E92C
.long 0xD3B2402E, 0x1802ED2E
	;; [unrolled: 5-line block ×13, first 2 shown]
.long 0xBF8202CA
.long 0xBF8C0F7B
.long 0xD3B24028, 0x1802D128
.long 0xD3B2402A, 0x1802D52A
.long 0xD3B2402C, 0x1802D92C
.long 0xD3B2402E, 0x1802DD2E
.long 0xBF8C0F7A
.long 0xD3B24028, 0x1802E128
.long 0xD3B2402A, 0x1802E52A
.long 0xD3B2402C, 0x1802E92C
.long 0xD3B2402E, 0x1802ED2E
	;; [unrolled: 5-line block ×12, first 2 shown]
.long 0xBF82025D
.long 0xBF8C0F7A
.long 0xD3B24028, 0x1802D128
.long 0xD3B2402A, 0x1802D52A
.long 0xD3B2402C, 0x1802D92C
.long 0xD3B2402E, 0x1802DD2E
.long 0xBF8C0F79
.long 0xD3B24028, 0x1802E128
.long 0xD3B2402A, 0x1802E52A
.long 0xD3B2402C, 0x1802E92C
.long 0xD3B2402E, 0x1802ED2E
	;; [unrolled: 5-line block ×11, first 2 shown]
.long 0xBF8201F9
.long 0xBF8C0F79
.long 0xD3B24028, 0x1802D128
.long 0xD3B2402A, 0x1802D52A
.long 0xD3B2402C, 0x1802D92C
.long 0xD3B2402E, 0x1802DD2E
.long 0xBF8C0F78
.long 0xD3B24028, 0x1802E128
.long 0xD3B2402A, 0x1802E52A
.long 0xD3B2402C, 0x1802E92C
.long 0xD3B2402E, 0x1802ED2E
.long 0xBF8C0F77
.long 0xD3B24028, 0x1802F128
.long 0xD3B2402A, 0x1802F52A
.long 0xD3B2402C, 0x1802F92C
.long 0xD3B2402E, 0x1802FD2E
.long 0xBF8C0F76
.long 0xD3B24028, 0x18030128
.long 0xD3B2402A, 0x1803052A
.long 0xD3B2402C, 0x1803092C
.long 0xD3B2402E, 0x18030D2E
.long 0xBF8C0F75
.long 0xD3B24028, 0x18031128
.long 0xD3B2402A, 0x1803152A
.long 0xD3B2402C, 0x1803192C
.long 0xD3B2402E, 0x18031D2E
.long 0xBF8C0F74
.long 0xD3B24028, 0x18032128
.long 0xD3B2402A, 0x1803252A
.long 0xD3B2402C, 0x1803292C
.long 0xD3B2402E, 0x18032D2E
.long 0xBF8C0F73
.long 0xD3B24028, 0x18033128
.long 0xD3B2402A, 0x1803352A
.long 0xD3B2402C, 0x1803392C
.long 0xD3B2402E, 0x18033D2E
.long 0xBF8C0F72
.long 0xD3B24028, 0x18034128
.long 0xD3B2402A, 0x1803452A
.long 0xD3B2402C, 0x1803492C
.long 0xD3B2402E, 0x18034D2E
.long 0xBF8C0F71
.long 0xD3B24028, 0x18035128
.long 0xD3B2402A, 0x1803552A
.long 0xD3B2402C, 0x1803592C
.long 0xD3B2402E, 0x18035D2E
.long 0xBF8C0F70
.long 0xD3B24028, 0x18036128
.long 0xD3B2402A, 0x1803652A
.long 0xD3B2402C, 0x1803692C
.long 0xD3B2402E, 0x18036D2E
.long 0xBF82019E
.long 0xBF8C0F78
.long 0xD3B24028, 0x1802D128
.long 0xD3B2402A, 0x1802D52A
.long 0xD3B2402C, 0x1802D92C
.long 0xD3B2402E, 0x1802DD2E
.long 0xBF8C0F77
.long 0xD3B24028, 0x1802E128
.long 0xD3B2402A, 0x1802E52A
.long 0xD3B2402C, 0x1802E92C
.long 0xD3B2402E, 0x1802ED2E
	;; [unrolled: 5-line block ×9, first 2 shown]
.long 0xBF82014C
.long 0xBF8C0F77
.long 0xD3B24028, 0x1802D128
.long 0xD3B2402A, 0x1802D52A
.long 0xD3B2402C, 0x1802D92C
.long 0xD3B2402E, 0x1802DD2E
.long 0xBF8C0F76
.long 0xD3B24028, 0x1802E128
.long 0xD3B2402A, 0x1802E52A
.long 0xD3B2402C, 0x1802E92C
.long 0xD3B2402E, 0x1802ED2E
	;; [unrolled: 5-line block ×8, first 2 shown]
.long 0xBF820103
.long 0xBF8C0F76
.long 0xD3B24028, 0x1802D128
.long 0xD3B2402A, 0x1802D52A
.long 0xD3B2402C, 0x1802D92C
.long 0xD3B2402E, 0x1802DD2E
.long 0xBF8C0F75
.long 0xD3B24028, 0x1802E128
.long 0xD3B2402A, 0x1802E52A
.long 0xD3B2402C, 0x1802E92C
.long 0xD3B2402E, 0x1802ED2E
	;; [unrolled: 5-line block ×7, first 2 shown]
.long 0xBF8200C3
.long 0xBF8C0F75
.long 0xD3B24028, 0x1802D128
.long 0xD3B2402A, 0x1802D52A
.long 0xD3B2402C, 0x1802D92C
.long 0xD3B2402E, 0x1802DD2E
.long 0xBF8C0F74
.long 0xD3B24028, 0x1802E128
.long 0xD3B2402A, 0x1802E52A
.long 0xD3B2402C, 0x1802E92C
.long 0xD3B2402E, 0x1802ED2E
	;; [unrolled: 5-line block ×6, first 2 shown]
.long 0xBF82008C
.long 0xBF8C0F74
.long 0xD3B24028, 0x1802D128
.long 0xD3B2402A, 0x1802D52A
.long 0xD3B2402C, 0x1802D92C
.long 0xD3B2402E, 0x1802DD2E
.long 0xBF8C0F73
.long 0xD3B24028, 0x1802E128
.long 0xD3B2402A, 0x1802E52A
.long 0xD3B2402C, 0x1802E92C
.long 0xD3B2402E, 0x1802ED2E
	;; [unrolled: 5-line block ×5, first 2 shown]
.long 0xBF82005E
.long 0xBF8C0F73
.long 0xD3B24028, 0x1802D128
.long 0xD3B2402A, 0x1802D52A
.long 0xD3B2402C, 0x1802D92C
.long 0xD3B2402E, 0x1802DD2E
.long 0xBF8C0F72
.long 0xD3B24028, 0x1802E128
.long 0xD3B2402A, 0x1802E52A
.long 0xD3B2402C, 0x1802E92C
.long 0xD3B2402E, 0x1802ED2E
	;; [unrolled: 5-line block ×4, first 2 shown]
.long 0xBF820039
.long 0xBF8C0F72
.long 0xD3B24028, 0x1802D128
.long 0xD3B2402A, 0x1802D52A
.long 0xD3B2402C, 0x1802D92C
.long 0xD3B2402E, 0x1802DD2E
.long 0xBF8C0F71
.long 0xD3B24028, 0x1802E128
.long 0xD3B2402A, 0x1802E52A
.long 0xD3B2402C, 0x1802E92C
.long 0xD3B2402E, 0x1802ED2E
	;; [unrolled: 5-line block ×3, first 2 shown]
.long 0xBF82001D
.long 0xBF8C0F71
.long 0xD3B24028, 0x1802D128
.long 0xD3B2402A, 0x1802D52A
	;; [unrolled: 1-line block ×4, first 2 shown]
.long 0xBF8C0F70
.long 0xD3B24028, 0x1802E128
.long 0xD3B2402A, 0x1802E52A
	;; [unrolled: 1-line block ×4, first 2 shown]
.long 0xBF82000A
.long 0xBF8C0F70
.long 0xD3B24028, 0x1802D128
.long 0xD3B2402A, 0x1802D52A
	;; [unrolled: 1-line block ×4, first 2 shown]
.long 0xBF820000
.long 0x0A505030
	;; [unrolled: 1-line block ×9, first 2 shown]
.long 0xD0CC0038, 0x0001004A
.long 0xD1000020, 0x00E240F2
	;; [unrolled: 1-line block ×28, first 2 shown]
.long 0x0A08503E
.long 0xD046006A, 0x00010128
.long 0x00505104
.long 0x0A08523E
.long 0xD046006A, 0x00010129
.long 0x00525304
	;; [unrolled: 3-line block ×8, first 2 shown]
.long 0x7E501528
.long 0x7E521529
.long 0xD2A00028, 0x00025328
.long 0x7E54152A
.long 0x7E56152B
.long 0xD2A00029, 0x0002572A
	;; [unrolled: 3-line block ×4, first 2 shown]
.long 0xE07CD000, 0x80142807
.long 0xBF800000
.long 0xBF800000
	;; [unrolled: 1-line block ×3, first 2 shown]
.long 0xD1FE0008, 0x02060102
.long 0xE05C1000, 0x80041008
	;; [unrolled: 1-line block ×4, first 2 shown]
.long 0x24121282
.long 0xBF8CC07F
	;; [unrolled: 1-line block ×3, first 2 shown]
.long 0xD9FE0000, 0x18000009
.long 0xD9FE0010, 0x1C000009
.long 0x24140082
.long 0xE05C1000, 0x8012200A
.long 0xE05C1010, 0x8012240A
	;; [unrolled: 1-line block ×12, first 2 shown]
.long 0xBF800001
.long 0xE07CD000, 0x80032806
.long 0xE07CD010, 0x80032C06
.long 0xBF800000
.long 0x92541415
	;; [unrolled: 1-line block ×16, first 2 shown]
.long 0xC2330CCC, 0x00000000
.long 0x965B811C
.long 0x925A811C
	;; [unrolled: 1-line block ×15, first 2 shown]
.long 0x7E1602FF, 0x80000000
.long 0xBEDC0016
.long 0xBEDD0017
	;; [unrolled: 1-line block ×7, first 2 shown]
.long 0xE05CD000, 0x80172806
.long 0xE05CD010, 0x80172C06
.long 0xBE850032
.long 0x81858105
	;; [unrolled: 1-line block ×6, first 2 shown]
.long 0xE05CD000, 0x80176806
.long 0xE05CD010, 0x80176C06
.long 0x81858105
.long 0x805C565C
.long 0x825D575D
.long 0xBF008005
.long 0xBF85057A
.long 0xE05CD000, 0x80177006
.long 0xE05CD010, 0x80177406
.long 0x81858105
.long 0x805C565C
.long 0x825D575D
.long 0xBF008005
.long 0xBF85055E
	;; [unrolled: 7-line block ×14, first 2 shown]
.long 0xE05CD000, 0x8017D806
.long 0xE05CD010, 0x8017DC06
.long 0xBF8C0F7E
.long 0xD3B24028, 0x1802D128
.long 0xD3B2402A, 0x1802D52A
.long 0xD3B2402C, 0x1802D92C
.long 0xD3B2402E, 0x1802DD2E
.long 0x81858105
.long 0xBF05CE05
.long 0xBF8504FF
.long 0x805C565C
.long 0x825D575D
.long 0xD0C60058, 0x00000A80
.long 0xD100000C, 0x01621706
.long 0xE05CD000, 0x8017680C
.long 0xE05CD010, 0x80176C0C
.long 0xBF8C0F7E
.long 0xD3B24028, 0x1802E128
.long 0xD3B2402A, 0x1802E52A
.long 0xD3B2402C, 0x1802E92C
.long 0xD3B2402E, 0x1802ED2E
.long 0x81858105
.long 0xBF05CE05
.long 0xBF8504E9
.long 0x805C565C
.long 0x825D575D
.long 0xD0C60058, 0x00000A80
.long 0xD100000C, 0x01621706
	;; [unrolled: 14-line block ×15, first 2 shown]
.long 0xE05CD000, 0x8017D80C
.long 0xE05CD010, 0x8017DC0C
.long 0xBF02CE05
.long 0xBF85FEB4
	;; [unrolled: 1-line block ×3, first 2 shown]
.long 0xD3B24028, 0x1802D128
.long 0xD3B2402A, 0x1802D52A
.long 0xD3B2402C, 0x1802D92C
.long 0xD3B2402E, 0x1802DD2E
.long 0xBF8C0F7C
.long 0xD3B24028, 0x1802E128
.long 0xD3B2402A, 0x1802E52A
.long 0xD3B2402C, 0x1802E92C
.long 0xD3B2402E, 0x1802ED2E
.long 0xBF8C0F7B
	;; [unrolled: 5-line block ×14, first 2 shown]
.long 0xBF8C0F7C
.long 0xD3B24028, 0x1802D128
.long 0xD3B2402A, 0x1802D52A
.long 0xD3B2402C, 0x1802D92C
.long 0xD3B2402E, 0x1802DD2E
.long 0xBF8C0F7B
.long 0xD3B24028, 0x1802E128
.long 0xD3B2402A, 0x1802E52A
.long 0xD3B2402C, 0x1802E92C
.long 0xD3B2402E, 0x1802ED2E
	;; [unrolled: 5-line block ×13, first 2 shown]
.long 0xBF8202CA
.long 0xBF8C0F7B
.long 0xD3B24028, 0x1802D128
.long 0xD3B2402A, 0x1802D52A
.long 0xD3B2402C, 0x1802D92C
.long 0xD3B2402E, 0x1802DD2E
.long 0xBF8C0F7A
.long 0xD3B24028, 0x1802E128
.long 0xD3B2402A, 0x1802E52A
.long 0xD3B2402C, 0x1802E92C
.long 0xD3B2402E, 0x1802ED2E
	;; [unrolled: 5-line block ×12, first 2 shown]
.long 0xBF82025D
.long 0xBF8C0F7A
.long 0xD3B24028, 0x1802D128
.long 0xD3B2402A, 0x1802D52A
.long 0xD3B2402C, 0x1802D92C
.long 0xD3B2402E, 0x1802DD2E
.long 0xBF8C0F79
.long 0xD3B24028, 0x1802E128
.long 0xD3B2402A, 0x1802E52A
.long 0xD3B2402C, 0x1802E92C
.long 0xD3B2402E, 0x1802ED2E
	;; [unrolled: 5-line block ×11, first 2 shown]
.long 0xBF8201F9
.long 0xBF8C0F79
.long 0xD3B24028, 0x1802D128
.long 0xD3B2402A, 0x1802D52A
.long 0xD3B2402C, 0x1802D92C
.long 0xD3B2402E, 0x1802DD2E
.long 0xBF8C0F78
.long 0xD3B24028, 0x1802E128
.long 0xD3B2402A, 0x1802E52A
.long 0xD3B2402C, 0x1802E92C
.long 0xD3B2402E, 0x1802ED2E
.long 0xBF8C0F77
.long 0xD3B24028, 0x1802F128
.long 0xD3B2402A, 0x1802F52A
.long 0xD3B2402C, 0x1802F92C
.long 0xD3B2402E, 0x1802FD2E
.long 0xBF8C0F76
.long 0xD3B24028, 0x18030128
.long 0xD3B2402A, 0x1803052A
.long 0xD3B2402C, 0x1803092C
.long 0xD3B2402E, 0x18030D2E
.long 0xBF8C0F75
.long 0xD3B24028, 0x18031128
.long 0xD3B2402A, 0x1803152A
.long 0xD3B2402C, 0x1803192C
.long 0xD3B2402E, 0x18031D2E
.long 0xBF8C0F74
.long 0xD3B24028, 0x18032128
.long 0xD3B2402A, 0x1803252A
.long 0xD3B2402C, 0x1803292C
.long 0xD3B2402E, 0x18032D2E
.long 0xBF8C0F73
.long 0xD3B24028, 0x18033128
.long 0xD3B2402A, 0x1803352A
.long 0xD3B2402C, 0x1803392C
.long 0xD3B2402E, 0x18033D2E
.long 0xBF8C0F72
.long 0xD3B24028, 0x18034128
.long 0xD3B2402A, 0x1803452A
.long 0xD3B2402C, 0x1803492C
.long 0xD3B2402E, 0x18034D2E
.long 0xBF8C0F71
.long 0xD3B24028, 0x18035128
.long 0xD3B2402A, 0x1803552A
.long 0xD3B2402C, 0x1803592C
.long 0xD3B2402E, 0x18035D2E
.long 0xBF8C0F70
.long 0xD3B24028, 0x18036128
.long 0xD3B2402A, 0x1803652A
.long 0xD3B2402C, 0x1803692C
.long 0xD3B2402E, 0x18036D2E
.long 0xBF82019E
.long 0xBF8C0F78
.long 0xD3B24028, 0x1802D128
.long 0xD3B2402A, 0x1802D52A
.long 0xD3B2402C, 0x1802D92C
.long 0xD3B2402E, 0x1802DD2E
.long 0xBF8C0F77
.long 0xD3B24028, 0x1802E128
.long 0xD3B2402A, 0x1802E52A
.long 0xD3B2402C, 0x1802E92C
.long 0xD3B2402E, 0x1802ED2E
	;; [unrolled: 5-line block ×9, first 2 shown]
.long 0xBF82014C
.long 0xBF8C0F77
.long 0xD3B24028, 0x1802D128
.long 0xD3B2402A, 0x1802D52A
.long 0xD3B2402C, 0x1802D92C
.long 0xD3B2402E, 0x1802DD2E
.long 0xBF8C0F76
.long 0xD3B24028, 0x1802E128
.long 0xD3B2402A, 0x1802E52A
.long 0xD3B2402C, 0x1802E92C
.long 0xD3B2402E, 0x1802ED2E
	;; [unrolled: 5-line block ×8, first 2 shown]
.long 0xBF820103
.long 0xBF8C0F76
.long 0xD3B24028, 0x1802D128
.long 0xD3B2402A, 0x1802D52A
.long 0xD3B2402C, 0x1802D92C
.long 0xD3B2402E, 0x1802DD2E
.long 0xBF8C0F75
.long 0xD3B24028, 0x1802E128
.long 0xD3B2402A, 0x1802E52A
.long 0xD3B2402C, 0x1802E92C
.long 0xD3B2402E, 0x1802ED2E
	;; [unrolled: 5-line block ×7, first 2 shown]
.long 0xBF8200C3
.long 0xBF8C0F75
.long 0xD3B24028, 0x1802D128
.long 0xD3B2402A, 0x1802D52A
.long 0xD3B2402C, 0x1802D92C
.long 0xD3B2402E, 0x1802DD2E
.long 0xBF8C0F74
.long 0xD3B24028, 0x1802E128
.long 0xD3B2402A, 0x1802E52A
.long 0xD3B2402C, 0x1802E92C
.long 0xD3B2402E, 0x1802ED2E
	;; [unrolled: 5-line block ×6, first 2 shown]
.long 0xBF82008C
.long 0xBF8C0F74
.long 0xD3B24028, 0x1802D128
.long 0xD3B2402A, 0x1802D52A
.long 0xD3B2402C, 0x1802D92C
.long 0xD3B2402E, 0x1802DD2E
.long 0xBF8C0F73
.long 0xD3B24028, 0x1802E128
.long 0xD3B2402A, 0x1802E52A
.long 0xD3B2402C, 0x1802E92C
.long 0xD3B2402E, 0x1802ED2E
.long 0xBF8C0F72
.long 0xD3B24028, 0x1802F128
.long 0xD3B2402A, 0x1802F52A
.long 0xD3B2402C, 0x1802F92C
.long 0xD3B2402E, 0x1802FD2E
.long 0xBF8C0F71
.long 0xD3B24028, 0x18030128
.long 0xD3B2402A, 0x1803052A
.long 0xD3B2402C, 0x1803092C
.long 0xD3B2402E, 0x18030D2E
.long 0xBF8C0F70
.long 0xD3B24028, 0x18031128
.long 0xD3B2402A, 0x1803152A
.long 0xD3B2402C, 0x1803192C
.long 0xD3B2402E, 0x18031D2E
.long 0xBF82005E
.long 0xBF8C0F73
.long 0xD3B24028, 0x1802D128
.long 0xD3B2402A, 0x1802D52A
.long 0xD3B2402C, 0x1802D92C
.long 0xD3B2402E, 0x1802DD2E
.long 0xBF8C0F72
.long 0xD3B24028, 0x1802E128
.long 0xD3B2402A, 0x1802E52A
.long 0xD3B2402C, 0x1802E92C
.long 0xD3B2402E, 0x1802ED2E
	;; [unrolled: 5-line block ×4, first 2 shown]
.long 0xBF820039
.long 0xBF8C0F72
.long 0xD3B24028, 0x1802D128
.long 0xD3B2402A, 0x1802D52A
.long 0xD3B2402C, 0x1802D92C
.long 0xD3B2402E, 0x1802DD2E
.long 0xBF8C0F71
.long 0xD3B24028, 0x1802E128
.long 0xD3B2402A, 0x1802E52A
.long 0xD3B2402C, 0x1802E92C
.long 0xD3B2402E, 0x1802ED2E
	;; [unrolled: 5-line block ×3, first 2 shown]
.long 0xBF82001D
.long 0xBF8C0F71
.long 0xD3B24028, 0x1802D128
.long 0xD3B2402A, 0x1802D52A
	;; [unrolled: 1-line block ×4, first 2 shown]
.long 0xBF8C0F70
.long 0xD3B24028, 0x1802E128
.long 0xD3B2402A, 0x1802E52A
	;; [unrolled: 1-line block ×4, first 2 shown]
.long 0xBF82000A
.long 0xBF8C0F70
.long 0xD3B24028, 0x1802D128
.long 0xD3B2402A, 0x1802D52A
	;; [unrolled: 1-line block ×4, first 2 shown]
.long 0xBF820000
.long 0x0A505030
	;; [unrolled: 1-line block ×9, first 2 shown]
.long 0xD0CC0038, 0x0001004A
.long 0xD1000020, 0x00E240F2
.long 0xD1000021, 0x00E242F2
.long 0xD3B14028, 0x18025120
.long 0xD0CC0038, 0x0001004A
.long 0xD1000022, 0x00E244F2
.long 0xD1000023, 0x00E246F2
.long 0xD3B1402A, 0x18025522
.long 0xD0CC0038, 0x0001004A
.long 0xD1000024, 0x00E248F2
.long 0xD1000025, 0x00E24AF2
.long 0xD3B1402C, 0x18025924
.long 0xD0CC0038, 0x0001004A
.long 0xD1000026, 0x00E24CF2
.long 0xD1000027, 0x00E24EF2
.long 0xD3B1402E, 0x18025D26
.long 0xD3A00028, 0x14A22031
.long 0xD3A01029, 0x14A62031
.long 0xD3A0002A, 0x14AA2231
.long 0xD3A0102B, 0x14AE2231
.long 0xD3A0002C, 0x14B22431
.long 0xD3A0102D, 0x14B62431
.long 0xD3A0002E, 0x14BA2631
.long 0xD3A0102F, 0x14BE2631
.long 0xD3B24028, 0x18025118
.long 0xD3B2402A, 0x1802551A
.long 0xD3B2402C, 0x1802591C
.long 0xD3B2402E, 0x18025D1E
.long 0xD10B0028, 0x00010128
.long 0xD10B0029, 0x00010129
.long 0xD10B002A, 0x0001012A
.long 0xD10B002B, 0x0001012B
.long 0xD10B002C, 0x0001012C
.long 0xD10B002D, 0x0001012D
.long 0xD10B002E, 0x0001012E
.long 0xD10B002F, 0x0001012F
.long 0x7E501528
.long 0x7E521529
.long 0xD2A00028, 0x00025328
.long 0x7E54152A
.long 0x7E56152B
.long 0xD2A00029, 0x0002572A
	;; [unrolled: 3-line block ×4, first 2 shown]
.long 0xE07CD000, 0x80142807
.long 0xBF800000
.long 0xBF800000
	;; [unrolled: 1-line block ×3, first 2 shown]
.long 0xD1FE0008, 0x02060102
.long 0xE05C1000, 0x80041008
.long 0x924202FF, 0x00000080
.long 0xD1350009, 0x00008500
.long 0x24121282
.long 0xBF8CC07F
	;; [unrolled: 1-line block ×3, first 2 shown]
.long 0xD9FE0000, 0x18000009
.long 0xD9FE0010, 0x1C000009
.long 0x24140082
.long 0xE05C1000, 0x8012200A
.long 0xE05C1010, 0x8012240A
.long 0xD1FE0006, 0x020A0103
.long 0xD1FE0007, 0x02060103
.long 0xD3D84028, 0x18000100
.long 0xD3D84029, 0x18000104
.long 0xD3D8402A, 0x18000101
.long 0xD3D8402B, 0x18000105
.long 0xD3D8402C, 0x18000102
.long 0xD3D8402D, 0x18000106
.long 0xD3D8402E, 0x18000103
.long 0xD3D8402F, 0x18000107
.long 0xBF800001
.long 0xE07CD000, 0x80032806
.long 0xE07CD010, 0x80032C06
.long 0xBF800000
.long 0x92541415
	;; [unrolled: 1-line block ×16, first 2 shown]
.long 0xC2330CCC, 0x00000000
.long 0x965B811C
.long 0x925A811C
	;; [unrolled: 1-line block ×15, first 2 shown]
.long 0x7E1602FF, 0x80000000
.long 0xBEDC0016
.long 0xBEDD0017
	;; [unrolled: 1-line block ×7, first 2 shown]
.long 0xE05CD000, 0x80172806
.long 0xE05CD010, 0x80172C06
.long 0xBE850032
.long 0x81858105
	;; [unrolled: 1-line block ×6, first 2 shown]
.long 0xE05CD000, 0x80176806
.long 0xE05CD010, 0x80176C06
.long 0x81858105
.long 0x805C565C
.long 0x825D575D
.long 0xBF008005
.long 0xBF85057A
.long 0xE05CD000, 0x80177006
.long 0xE05CD010, 0x80177406
.long 0x81858105
.long 0x805C565C
.long 0x825D575D
.long 0xBF008005
.long 0xBF85055E
	;; [unrolled: 7-line block ×14, first 2 shown]
.long 0xE05CD000, 0x8017D806
.long 0xE05CD010, 0x8017DC06
.long 0xBF8C0F7E
.long 0xD3B24028, 0x1802D128
.long 0xD3B2402A, 0x1802D52A
.long 0xD3B2402C, 0x1802D92C
.long 0xD3B2402E, 0x1802DD2E
.long 0x81858105
.long 0xBF05CE05
.long 0xBF8504FF
.long 0x805C565C
.long 0x825D575D
.long 0xD0C60058, 0x00000A80
.long 0xD100000C, 0x01621706
.long 0xE05CD000, 0x8017680C
.long 0xE05CD010, 0x80176C0C
.long 0xBF8C0F7E
.long 0xD3B24028, 0x1802E128
.long 0xD3B2402A, 0x1802E52A
.long 0xD3B2402C, 0x1802E92C
.long 0xD3B2402E, 0x1802ED2E
.long 0x81858105
.long 0xBF05CE05
.long 0xBF8504E9
.long 0x805C565C
.long 0x825D575D
.long 0xD0C60058, 0x00000A80
.long 0xD100000C, 0x01621706
	;; [unrolled: 14-line block ×15, first 2 shown]
.long 0xE05CD000, 0x8017D80C
.long 0xE05CD010, 0x8017DC0C
.long 0xBF02CE05
.long 0xBF85FEB4
	;; [unrolled: 1-line block ×3, first 2 shown]
.long 0xD3B24028, 0x1802D128
.long 0xD3B2402A, 0x1802D52A
.long 0xD3B2402C, 0x1802D92C
.long 0xD3B2402E, 0x1802DD2E
.long 0xBF8C0F7C
.long 0xD3B24028, 0x1802E128
.long 0xD3B2402A, 0x1802E52A
.long 0xD3B2402C, 0x1802E92C
.long 0xD3B2402E, 0x1802ED2E
.long 0xBF8C0F7B
	;; [unrolled: 5-line block ×14, first 2 shown]
.long 0xBF8C0F7C
.long 0xD3B24028, 0x1802D128
.long 0xD3B2402A, 0x1802D52A
.long 0xD3B2402C, 0x1802D92C
.long 0xD3B2402E, 0x1802DD2E
.long 0xBF8C0F7B
.long 0xD3B24028, 0x1802E128
.long 0xD3B2402A, 0x1802E52A
.long 0xD3B2402C, 0x1802E92C
.long 0xD3B2402E, 0x1802ED2E
.long 0xBF8C0F7A
.long 0xD3B24028, 0x1802F128
.long 0xD3B2402A, 0x1802F52A
.long 0xD3B2402C, 0x1802F92C
.long 0xD3B2402E, 0x1802FD2E
.long 0xBF8C0F79
.long 0xD3B24028, 0x18030128
.long 0xD3B2402A, 0x1803052A
.long 0xD3B2402C, 0x1803092C
.long 0xD3B2402E, 0x18030D2E
.long 0xBF8C0F78
.long 0xD3B24028, 0x18031128
.long 0xD3B2402A, 0x1803152A
.long 0xD3B2402C, 0x1803192C
.long 0xD3B2402E, 0x18031D2E
.long 0xBF8C0F77
.long 0xD3B24028, 0x18032128
.long 0xD3B2402A, 0x1803252A
.long 0xD3B2402C, 0x1803292C
.long 0xD3B2402E, 0x18032D2E
.long 0xBF8C0F76
.long 0xD3B24028, 0x18033128
.long 0xD3B2402A, 0x1803352A
.long 0xD3B2402C, 0x1803392C
.long 0xD3B2402E, 0x18033D2E
.long 0xBF8C0F75
.long 0xD3B24028, 0x18034128
.long 0xD3B2402A, 0x1803452A
.long 0xD3B2402C, 0x1803492C
.long 0xD3B2402E, 0x18034D2E
.long 0xBF8C0F74
.long 0xD3B24028, 0x18035128
.long 0xD3B2402A, 0x1803552A
.long 0xD3B2402C, 0x1803592C
.long 0xD3B2402E, 0x18035D2E
.long 0xBF8C0F73
.long 0xD3B24028, 0x18036128
.long 0xD3B2402A, 0x1803652A
.long 0xD3B2402C, 0x1803692C
.long 0xD3B2402E, 0x18036D2E
.long 0xBF8C0F72
.long 0xD3B24028, 0x18037128
.long 0xD3B2402A, 0x1803752A
.long 0xD3B2402C, 0x1803792C
.long 0xD3B2402E, 0x18037D2E
.long 0xBF8C0F71
.long 0xD3B24028, 0x18038128
.long 0xD3B2402A, 0x1803852A
.long 0xD3B2402C, 0x1803892C
.long 0xD3B2402E, 0x18038D2E
.long 0xBF8C0F70
.long 0xD3B24028, 0x18039128
.long 0xD3B2402A, 0x1803952A
.long 0xD3B2402C, 0x1803992C
.long 0xD3B2402E, 0x18039D2E
.long 0xBF8202CA
.long 0xBF8C0F7B
.long 0xD3B24028, 0x1802D128
.long 0xD3B2402A, 0x1802D52A
.long 0xD3B2402C, 0x1802D92C
.long 0xD3B2402E, 0x1802DD2E
.long 0xBF8C0F7A
.long 0xD3B24028, 0x1802E128
.long 0xD3B2402A, 0x1802E52A
.long 0xD3B2402C, 0x1802E92C
.long 0xD3B2402E, 0x1802ED2E
	;; [unrolled: 5-line block ×12, first 2 shown]
.long 0xBF82025D
.long 0xBF8C0F7A
.long 0xD3B24028, 0x1802D128
.long 0xD3B2402A, 0x1802D52A
.long 0xD3B2402C, 0x1802D92C
.long 0xD3B2402E, 0x1802DD2E
.long 0xBF8C0F79
.long 0xD3B24028, 0x1802E128
.long 0xD3B2402A, 0x1802E52A
.long 0xD3B2402C, 0x1802E92C
.long 0xD3B2402E, 0x1802ED2E
	;; [unrolled: 5-line block ×11, first 2 shown]
.long 0xBF8201F9
.long 0xBF8C0F79
.long 0xD3B24028, 0x1802D128
.long 0xD3B2402A, 0x1802D52A
.long 0xD3B2402C, 0x1802D92C
.long 0xD3B2402E, 0x1802DD2E
.long 0xBF8C0F78
.long 0xD3B24028, 0x1802E128
.long 0xD3B2402A, 0x1802E52A
.long 0xD3B2402C, 0x1802E92C
.long 0xD3B2402E, 0x1802ED2E
.long 0xBF8C0F77
.long 0xD3B24028, 0x1802F128
.long 0xD3B2402A, 0x1802F52A
.long 0xD3B2402C, 0x1802F92C
.long 0xD3B2402E, 0x1802FD2E
.long 0xBF8C0F76
.long 0xD3B24028, 0x18030128
.long 0xD3B2402A, 0x1803052A
.long 0xD3B2402C, 0x1803092C
.long 0xD3B2402E, 0x18030D2E
.long 0xBF8C0F75
.long 0xD3B24028, 0x18031128
.long 0xD3B2402A, 0x1803152A
.long 0xD3B2402C, 0x1803192C
.long 0xD3B2402E, 0x18031D2E
.long 0xBF8C0F74
.long 0xD3B24028, 0x18032128
.long 0xD3B2402A, 0x1803252A
.long 0xD3B2402C, 0x1803292C
.long 0xD3B2402E, 0x18032D2E
.long 0xBF8C0F73
.long 0xD3B24028, 0x18033128
.long 0xD3B2402A, 0x1803352A
.long 0xD3B2402C, 0x1803392C
.long 0xD3B2402E, 0x18033D2E
.long 0xBF8C0F72
.long 0xD3B24028, 0x18034128
.long 0xD3B2402A, 0x1803452A
.long 0xD3B2402C, 0x1803492C
.long 0xD3B2402E, 0x18034D2E
.long 0xBF8C0F71
.long 0xD3B24028, 0x18035128
.long 0xD3B2402A, 0x1803552A
.long 0xD3B2402C, 0x1803592C
.long 0xD3B2402E, 0x18035D2E
.long 0xBF8C0F70
.long 0xD3B24028, 0x18036128
.long 0xD3B2402A, 0x1803652A
.long 0xD3B2402C, 0x1803692C
.long 0xD3B2402E, 0x18036D2E
.long 0xBF82019E
.long 0xBF8C0F78
.long 0xD3B24028, 0x1802D128
.long 0xD3B2402A, 0x1802D52A
.long 0xD3B2402C, 0x1802D92C
.long 0xD3B2402E, 0x1802DD2E
.long 0xBF8C0F77
.long 0xD3B24028, 0x1802E128
.long 0xD3B2402A, 0x1802E52A
.long 0xD3B2402C, 0x1802E92C
.long 0xD3B2402E, 0x1802ED2E
	;; [unrolled: 5-line block ×9, first 2 shown]
.long 0xBF82014C
.long 0xBF8C0F77
.long 0xD3B24028, 0x1802D128
.long 0xD3B2402A, 0x1802D52A
.long 0xD3B2402C, 0x1802D92C
.long 0xD3B2402E, 0x1802DD2E
.long 0xBF8C0F76
.long 0xD3B24028, 0x1802E128
.long 0xD3B2402A, 0x1802E52A
.long 0xD3B2402C, 0x1802E92C
.long 0xD3B2402E, 0x1802ED2E
	;; [unrolled: 5-line block ×8, first 2 shown]
.long 0xBF820103
.long 0xBF8C0F76
.long 0xD3B24028, 0x1802D128
.long 0xD3B2402A, 0x1802D52A
.long 0xD3B2402C, 0x1802D92C
.long 0xD3B2402E, 0x1802DD2E
.long 0xBF8C0F75
.long 0xD3B24028, 0x1802E128
.long 0xD3B2402A, 0x1802E52A
.long 0xD3B2402C, 0x1802E92C
.long 0xD3B2402E, 0x1802ED2E
.long 0xBF8C0F74
.long 0xD3B24028, 0x1802F128
.long 0xD3B2402A, 0x1802F52A
.long 0xD3B2402C, 0x1802F92C
.long 0xD3B2402E, 0x1802FD2E
.long 0xBF8C0F73
.long 0xD3B24028, 0x18030128
.long 0xD3B2402A, 0x1803052A
.long 0xD3B2402C, 0x1803092C
.long 0xD3B2402E, 0x18030D2E
.long 0xBF8C0F72
.long 0xD3B24028, 0x18031128
.long 0xD3B2402A, 0x1803152A
.long 0xD3B2402C, 0x1803192C
.long 0xD3B2402E, 0x18031D2E
.long 0xBF8C0F71
.long 0xD3B24028, 0x18032128
.long 0xD3B2402A, 0x1803252A
.long 0xD3B2402C, 0x1803292C
.long 0xD3B2402E, 0x18032D2E
.long 0xBF8C0F70
.long 0xD3B24028, 0x18033128
.long 0xD3B2402A, 0x1803352A
.long 0xD3B2402C, 0x1803392C
.long 0xD3B2402E, 0x18033D2E
.long 0xBF8200C3
.long 0xBF8C0F75
.long 0xD3B24028, 0x1802D128
.long 0xD3B2402A, 0x1802D52A
.long 0xD3B2402C, 0x1802D92C
.long 0xD3B2402E, 0x1802DD2E
.long 0xBF8C0F74
.long 0xD3B24028, 0x1802E128
.long 0xD3B2402A, 0x1802E52A
.long 0xD3B2402C, 0x1802E92C
.long 0xD3B2402E, 0x1802ED2E
	;; [unrolled: 5-line block ×6, first 2 shown]
.long 0xBF82008C
.long 0xBF8C0F74
.long 0xD3B24028, 0x1802D128
.long 0xD3B2402A, 0x1802D52A
.long 0xD3B2402C, 0x1802D92C
.long 0xD3B2402E, 0x1802DD2E
.long 0xBF8C0F73
.long 0xD3B24028, 0x1802E128
.long 0xD3B2402A, 0x1802E52A
.long 0xD3B2402C, 0x1802E92C
.long 0xD3B2402E, 0x1802ED2E
	;; [unrolled: 5-line block ×5, first 2 shown]
.long 0xBF82005E
.long 0xBF8C0F73
.long 0xD3B24028, 0x1802D128
.long 0xD3B2402A, 0x1802D52A
.long 0xD3B2402C, 0x1802D92C
.long 0xD3B2402E, 0x1802DD2E
.long 0xBF8C0F72
.long 0xD3B24028, 0x1802E128
.long 0xD3B2402A, 0x1802E52A
.long 0xD3B2402C, 0x1802E92C
.long 0xD3B2402E, 0x1802ED2E
	;; [unrolled: 5-line block ×4, first 2 shown]
.long 0xBF820039
.long 0xBF8C0F72
.long 0xD3B24028, 0x1802D128
.long 0xD3B2402A, 0x1802D52A
.long 0xD3B2402C, 0x1802D92C
.long 0xD3B2402E, 0x1802DD2E
.long 0xBF8C0F71
.long 0xD3B24028, 0x1802E128
.long 0xD3B2402A, 0x1802E52A
.long 0xD3B2402C, 0x1802E92C
.long 0xD3B2402E, 0x1802ED2E
	;; [unrolled: 5-line block ×3, first 2 shown]
.long 0xBF82001D
.long 0xBF8C0F71
.long 0xD3B24028, 0x1802D128
.long 0xD3B2402A, 0x1802D52A
	;; [unrolled: 1-line block ×4, first 2 shown]
.long 0xBF8C0F70
.long 0xD3B24028, 0x1802E128
.long 0xD3B2402A, 0x1802E52A
	;; [unrolled: 1-line block ×4, first 2 shown]
.long 0xBF82000A
.long 0xBF8C0F70
.long 0xD3B24028, 0x1802D128
.long 0xD3B2402A, 0x1802D52A
	;; [unrolled: 1-line block ×4, first 2 shown]
.long 0xBF820000
.long 0x0A505030
	;; [unrolled: 1-line block ×9, first 2 shown]
.long 0xD0CC0038, 0x0001004A
.long 0xD1000020, 0x00E240F2
	;; [unrolled: 1-line block ×29, first 2 shown]
.long 0x7E504128
.long 0xBF800000
.long 0x025050F2
.long 0x7E504528
.long 0xBF800000
.long 0x0A5252FF, 0xBFB8AA3B
.long 0x7E524129
.long 0xBF800000
.long 0x025252F2
.long 0x7E524529
.long 0xBF800000
.long 0x0A5454FF, 0xBFB8AA3B
	;; [unrolled: 6-line block ×7, first 2 shown]
.long 0x7E5E412F
.long 0xBF800000
	;; [unrolled: 1-line block ×7, first 2 shown]
.long 0xD2A00028, 0x00025328
.long 0x7E54152A
.long 0x7E56152B
.long 0xD2A00029, 0x0002572A
.long 0x7E58152C
.long 0x7E5A152D
	;; [unrolled: 3-line block ×3, first 2 shown]
.long 0xD2A0002B, 0x00025F2E
.long 0xE07CD000, 0x80142807
.long 0xBF800000
.long 0xBF800000
	;; [unrolled: 1-line block ×3, first 2 shown]
.long 0xD1FE0008, 0x02060102
.long 0xE05C1000, 0x80041008
	;; [unrolled: 1-line block ×4, first 2 shown]
.long 0x24121282
.long 0xBF8CC07F
	;; [unrolled: 1-line block ×3, first 2 shown]
.long 0xD9FE0000, 0x18000009
.long 0xD9FE0010, 0x1C000009
.long 0x24140082
.long 0xE05C1000, 0x8012200A
.long 0xE05C1010, 0x8012240A
	;; [unrolled: 1-line block ×12, first 2 shown]
.long 0xBF800001
.long 0xE07CD000, 0x80032806
.long 0xE07CD010, 0x80032C06
.long 0xBF800000
.long 0x92541415
.long 0x92330454
.long 0x92411403
.long 0x80410241
.long 0x80413341
.long 0x7E660566
.long 0x92541E54
.long 0x8F338633
.long 0x92333354
.long 0x80414133
.long 0x8E418241
.long 0x80184146
.long 0x82198047
.long 0xBF8C0000
.long 0x80B38132
.long 0xC2330CCC, 0x00000000
.long 0x965B811C
.long 0x925A811C
	;; [unrolled: 1-line block ×15, first 2 shown]
.long 0x7E1602FF, 0x80000000
.long 0xBEDC0016
.long 0xBEDD0017
	;; [unrolled: 1-line block ×7, first 2 shown]
.long 0xE05CD000, 0x80172806
.long 0xE05CD010, 0x80172C06
.long 0xBE850032
.long 0x81858105
	;; [unrolled: 1-line block ×6, first 2 shown]
.long 0xE05CD000, 0x80176806
.long 0xE05CD010, 0x80176C06
.long 0x81858105
.long 0x805C565C
.long 0x825D575D
.long 0xBF008005
.long 0xBF85057A
.long 0xE05CD000, 0x80177006
.long 0xE05CD010, 0x80177406
.long 0x81858105
.long 0x805C565C
.long 0x825D575D
.long 0xBF008005
.long 0xBF85055E
	;; [unrolled: 7-line block ×14, first 2 shown]
.long 0xE05CD000, 0x8017D806
.long 0xE05CD010, 0x8017DC06
.long 0xBF8C0F7E
.long 0xD3B24028, 0x1802D128
.long 0xD3B2402A, 0x1802D52A
.long 0xD3B2402C, 0x1802D92C
.long 0xD3B2402E, 0x1802DD2E
.long 0x81858105
.long 0xBF05CE05
.long 0xBF8504FF
.long 0x805C565C
.long 0x825D575D
.long 0xD0C60058, 0x00000A80
.long 0xD100000C, 0x01621706
.long 0xE05CD000, 0x8017680C
.long 0xE05CD010, 0x80176C0C
.long 0xBF8C0F7E
.long 0xD3B24028, 0x1802E128
.long 0xD3B2402A, 0x1802E52A
.long 0xD3B2402C, 0x1802E92C
.long 0xD3B2402E, 0x1802ED2E
.long 0x81858105
.long 0xBF05CE05
.long 0xBF8504E9
.long 0x805C565C
.long 0x825D575D
.long 0xD0C60058, 0x00000A80
.long 0xD100000C, 0x01621706
	;; [unrolled: 14-line block ×15, first 2 shown]
.long 0xE05CD000, 0x8017D80C
.long 0xE05CD010, 0x8017DC0C
.long 0xBF02CE05
.long 0xBF85FEB4
.long 0xBF8C0F7D
.long 0xD3B24028, 0x1802D128
.long 0xD3B2402A, 0x1802D52A
.long 0xD3B2402C, 0x1802D92C
.long 0xD3B2402E, 0x1802DD2E
.long 0xBF8C0F7C
.long 0xD3B24028, 0x1802E128
.long 0xD3B2402A, 0x1802E52A
.long 0xD3B2402C, 0x1802E92C
.long 0xD3B2402E, 0x1802ED2E
.long 0xBF8C0F7B
	;; [unrolled: 5-line block ×14, first 2 shown]
.long 0xBF8C0F7C
.long 0xD3B24028, 0x1802D128
.long 0xD3B2402A, 0x1802D52A
.long 0xD3B2402C, 0x1802D92C
.long 0xD3B2402E, 0x1802DD2E
.long 0xBF8C0F7B
.long 0xD3B24028, 0x1802E128
.long 0xD3B2402A, 0x1802E52A
.long 0xD3B2402C, 0x1802E92C
.long 0xD3B2402E, 0x1802ED2E
	;; [unrolled: 5-line block ×13, first 2 shown]
.long 0xBF8202CA
.long 0xBF8C0F7B
.long 0xD3B24028, 0x1802D128
.long 0xD3B2402A, 0x1802D52A
.long 0xD3B2402C, 0x1802D92C
.long 0xD3B2402E, 0x1802DD2E
.long 0xBF8C0F7A
.long 0xD3B24028, 0x1802E128
.long 0xD3B2402A, 0x1802E52A
.long 0xD3B2402C, 0x1802E92C
.long 0xD3B2402E, 0x1802ED2E
.long 0xBF8C0F79
.long 0xD3B24028, 0x1802F128
.long 0xD3B2402A, 0x1802F52A
.long 0xD3B2402C, 0x1802F92C
.long 0xD3B2402E, 0x1802FD2E
.long 0xBF8C0F78
.long 0xD3B24028, 0x18030128
.long 0xD3B2402A, 0x1803052A
.long 0xD3B2402C, 0x1803092C
.long 0xD3B2402E, 0x18030D2E
.long 0xBF8C0F77
.long 0xD3B24028, 0x18031128
.long 0xD3B2402A, 0x1803152A
.long 0xD3B2402C, 0x1803192C
.long 0xD3B2402E, 0x18031D2E
.long 0xBF8C0F76
.long 0xD3B24028, 0x18032128
.long 0xD3B2402A, 0x1803252A
.long 0xD3B2402C, 0x1803292C
.long 0xD3B2402E, 0x18032D2E
.long 0xBF8C0F75
.long 0xD3B24028, 0x18033128
.long 0xD3B2402A, 0x1803352A
.long 0xD3B2402C, 0x1803392C
.long 0xD3B2402E, 0x18033D2E
.long 0xBF8C0F74
.long 0xD3B24028, 0x18034128
.long 0xD3B2402A, 0x1803452A
.long 0xD3B2402C, 0x1803492C
.long 0xD3B2402E, 0x18034D2E
.long 0xBF8C0F73
.long 0xD3B24028, 0x18035128
.long 0xD3B2402A, 0x1803552A
.long 0xD3B2402C, 0x1803592C
.long 0xD3B2402E, 0x18035D2E
.long 0xBF8C0F72
.long 0xD3B24028, 0x18036128
.long 0xD3B2402A, 0x1803652A
.long 0xD3B2402C, 0x1803692C
.long 0xD3B2402E, 0x18036D2E
.long 0xBF8C0F71
.long 0xD3B24028, 0x18037128
.long 0xD3B2402A, 0x1803752A
.long 0xD3B2402C, 0x1803792C
.long 0xD3B2402E, 0x18037D2E
.long 0xBF8C0F70
.long 0xD3B24028, 0x18038128
.long 0xD3B2402A, 0x1803852A
.long 0xD3B2402C, 0x1803892C
.long 0xD3B2402E, 0x18038D2E
.long 0xBF82025D
.long 0xBF8C0F7A
.long 0xD3B24028, 0x1802D128
.long 0xD3B2402A, 0x1802D52A
.long 0xD3B2402C, 0x1802D92C
.long 0xD3B2402E, 0x1802DD2E
.long 0xBF8C0F79
.long 0xD3B24028, 0x1802E128
.long 0xD3B2402A, 0x1802E52A
.long 0xD3B2402C, 0x1802E92C
.long 0xD3B2402E, 0x1802ED2E
	;; [unrolled: 5-line block ×11, first 2 shown]
.long 0xBF8201F9
.long 0xBF8C0F79
.long 0xD3B24028, 0x1802D128
.long 0xD3B2402A, 0x1802D52A
.long 0xD3B2402C, 0x1802D92C
.long 0xD3B2402E, 0x1802DD2E
.long 0xBF8C0F78
.long 0xD3B24028, 0x1802E128
.long 0xD3B2402A, 0x1802E52A
.long 0xD3B2402C, 0x1802E92C
.long 0xD3B2402E, 0x1802ED2E
	;; [unrolled: 5-line block ×10, first 2 shown]
.long 0xBF82019E
.long 0xBF8C0F78
.long 0xD3B24028, 0x1802D128
.long 0xD3B2402A, 0x1802D52A
.long 0xD3B2402C, 0x1802D92C
.long 0xD3B2402E, 0x1802DD2E
.long 0xBF8C0F77
.long 0xD3B24028, 0x1802E128
.long 0xD3B2402A, 0x1802E52A
.long 0xD3B2402C, 0x1802E92C
.long 0xD3B2402E, 0x1802ED2E
	;; [unrolled: 5-line block ×9, first 2 shown]
.long 0xBF82014C
.long 0xBF8C0F77
.long 0xD3B24028, 0x1802D128
.long 0xD3B2402A, 0x1802D52A
.long 0xD3B2402C, 0x1802D92C
.long 0xD3B2402E, 0x1802DD2E
.long 0xBF8C0F76
.long 0xD3B24028, 0x1802E128
.long 0xD3B2402A, 0x1802E52A
.long 0xD3B2402C, 0x1802E92C
.long 0xD3B2402E, 0x1802ED2E
	;; [unrolled: 5-line block ×8, first 2 shown]
.long 0xBF820103
.long 0xBF8C0F76
.long 0xD3B24028, 0x1802D128
.long 0xD3B2402A, 0x1802D52A
.long 0xD3B2402C, 0x1802D92C
.long 0xD3B2402E, 0x1802DD2E
.long 0xBF8C0F75
.long 0xD3B24028, 0x1802E128
.long 0xD3B2402A, 0x1802E52A
.long 0xD3B2402C, 0x1802E92C
.long 0xD3B2402E, 0x1802ED2E
	;; [unrolled: 5-line block ×7, first 2 shown]
.long 0xBF8200C3
.long 0xBF8C0F75
.long 0xD3B24028, 0x1802D128
.long 0xD3B2402A, 0x1802D52A
.long 0xD3B2402C, 0x1802D92C
.long 0xD3B2402E, 0x1802DD2E
.long 0xBF8C0F74
.long 0xD3B24028, 0x1802E128
.long 0xD3B2402A, 0x1802E52A
.long 0xD3B2402C, 0x1802E92C
.long 0xD3B2402E, 0x1802ED2E
	;; [unrolled: 5-line block ×6, first 2 shown]
.long 0xBF82008C
.long 0xBF8C0F74
.long 0xD3B24028, 0x1802D128
.long 0xD3B2402A, 0x1802D52A
.long 0xD3B2402C, 0x1802D92C
.long 0xD3B2402E, 0x1802DD2E
.long 0xBF8C0F73
.long 0xD3B24028, 0x1802E128
.long 0xD3B2402A, 0x1802E52A
.long 0xD3B2402C, 0x1802E92C
.long 0xD3B2402E, 0x1802ED2E
	;; [unrolled: 5-line block ×5, first 2 shown]
.long 0xBF82005E
.long 0xBF8C0F73
.long 0xD3B24028, 0x1802D128
.long 0xD3B2402A, 0x1802D52A
.long 0xD3B2402C, 0x1802D92C
.long 0xD3B2402E, 0x1802DD2E
.long 0xBF8C0F72
.long 0xD3B24028, 0x1802E128
.long 0xD3B2402A, 0x1802E52A
.long 0xD3B2402C, 0x1802E92C
.long 0xD3B2402E, 0x1802ED2E
	;; [unrolled: 5-line block ×4, first 2 shown]
.long 0xBF820039
.long 0xBF8C0F72
.long 0xD3B24028, 0x1802D128
.long 0xD3B2402A, 0x1802D52A
.long 0xD3B2402C, 0x1802D92C
.long 0xD3B2402E, 0x1802DD2E
.long 0xBF8C0F71
.long 0xD3B24028, 0x1802E128
.long 0xD3B2402A, 0x1802E52A
.long 0xD3B2402C, 0x1802E92C
.long 0xD3B2402E, 0x1802ED2E
	;; [unrolled: 5-line block ×3, first 2 shown]
.long 0xBF82001D
.long 0xBF8C0F71
.long 0xD3B24028, 0x1802D128
.long 0xD3B2402A, 0x1802D52A
	;; [unrolled: 1-line block ×4, first 2 shown]
.long 0xBF8C0F70
.long 0xD3B24028, 0x1802E128
.long 0xD3B2402A, 0x1802E52A
	;; [unrolled: 1-line block ×4, first 2 shown]
.long 0xBF82000A
.long 0xBF8C0F70
.long 0xD3B24028, 0x1802D128
.long 0xD3B2402A, 0x1802D52A
	;; [unrolled: 1-line block ×4, first 2 shown]
.long 0xBF820000
.long 0x0A505030
	;; [unrolled: 1-line block ×9, first 2 shown]
.long 0xD0CC0038, 0x0001004A
.long 0xD1000020, 0x00E240F2
	;; [unrolled: 1-line block ×28, first 2 shown]
.long 0x0A50503E
.long 0x0A5050FF, 0x4038AA3B
.long 0x7E504128
.long 0xBF800000
.long 0x025050F2
.long 0x7E504528
.long 0xBF800000
.long 0xD1CB0028, 0x03CA50F5
.long 0x0A50503F
.long 0x0A52523E
.long 0x0A5252FF, 0x4038AA3B
.long 0x7E524129
.long 0xBF800000
.long 0x025252F2
.long 0x7E524529
.long 0xBF800000
.long 0xD1CB0029, 0x03CA52F5
.long 0x0A52523F
	;; [unrolled: 9-line block ×8, first 2 shown]
.long 0x7E501528
.long 0x7E521529
.long 0xD2A00028, 0x00025328
.long 0x7E54152A
.long 0x7E56152B
.long 0xD2A00029, 0x0002572A
	;; [unrolled: 3-line block ×4, first 2 shown]
.long 0xE07CD000, 0x80142807
.long 0xBF800000
.long 0xBF800000
	;; [unrolled: 1-line block ×3, first 2 shown]
.long 0xD1FE0008, 0x02060102
.long 0xE05C1000, 0x80041008
	;; [unrolled: 1-line block ×4, first 2 shown]
.long 0x24121282
.long 0xBF8CC07F
	;; [unrolled: 1-line block ×3, first 2 shown]
.long 0xD9FE0000, 0x18000009
.long 0xD9FE0010, 0x1C000009
.long 0x24140082
.long 0xE05C1000, 0x8012200A
.long 0xE05C1010, 0x8012240A
.long 0xD1FE0006, 0x020A0103
.long 0xD1FE0007, 0x02060103
.long 0xD3D84028, 0x18000100
.long 0xD3D84029, 0x18000104
.long 0xD3D8402A, 0x18000101
.long 0xD3D8402B, 0x18000105
.long 0xD3D8402C, 0x18000102
.long 0xD3D8402D, 0x18000106
.long 0xD3D8402E, 0x18000103
.long 0xD3D8402F, 0x18000107
.long 0xBF800001
.long 0xE07CD000, 0x80032806
.long 0xE07CD010, 0x80032C06
.long 0xBF800000
.long 0x92541415
	;; [unrolled: 1-line block ×16, first 2 shown]
.long 0xC2330CCC, 0x00000000
.long 0x965B811C
.long 0x925A811C
	;; [unrolled: 1-line block ×15, first 2 shown]
.long 0x7E1602FF, 0x80000000
.long 0xBEDC0016
.long 0xBEDD0017
	;; [unrolled: 1-line block ×7, first 2 shown]
.long 0xE05CD000, 0x80172806
.long 0xE05CD010, 0x80172C06
.long 0xBE850032
.long 0x81858105
	;; [unrolled: 1-line block ×6, first 2 shown]
.long 0xE05CD000, 0x80176806
.long 0xE05CD010, 0x80176C06
.long 0x81858105
.long 0x805C565C
.long 0x825D575D
.long 0xBF008005
.long 0xBF85057A
.long 0xE05CD000, 0x80177006
.long 0xE05CD010, 0x80177406
.long 0x81858105
.long 0x805C565C
.long 0x825D575D
.long 0xBF008005
.long 0xBF85055E
	;; [unrolled: 7-line block ×14, first 2 shown]
.long 0xE05CD000, 0x8017D806
.long 0xE05CD010, 0x8017DC06
.long 0xBF8C0F7E
.long 0xD3B24028, 0x1802D128
.long 0xD3B2402A, 0x1802D52A
.long 0xD3B2402C, 0x1802D92C
.long 0xD3B2402E, 0x1802DD2E
.long 0x81858105
.long 0xBF05CE05
.long 0xBF8504FF
.long 0x805C565C
.long 0x825D575D
.long 0xD0C60058, 0x00000A80
.long 0xD100000C, 0x01621706
.long 0xE05CD000, 0x8017680C
.long 0xE05CD010, 0x80176C0C
.long 0xBF8C0F7E
.long 0xD3B24028, 0x1802E128
.long 0xD3B2402A, 0x1802E52A
.long 0xD3B2402C, 0x1802E92C
.long 0xD3B2402E, 0x1802ED2E
.long 0x81858105
.long 0xBF05CE05
.long 0xBF8504E9
.long 0x805C565C
.long 0x825D575D
.long 0xD0C60058, 0x00000A80
.long 0xD100000C, 0x01621706
	;; [unrolled: 14-line block ×15, first 2 shown]
.long 0xE05CD000, 0x8017D80C
.long 0xE05CD010, 0x8017DC0C
.long 0xBF02CE05
.long 0xBF85FEB4
	;; [unrolled: 1-line block ×3, first 2 shown]
.long 0xD3B24028, 0x1802D128
.long 0xD3B2402A, 0x1802D52A
.long 0xD3B2402C, 0x1802D92C
.long 0xD3B2402E, 0x1802DD2E
.long 0xBF8C0F7C
.long 0xD3B24028, 0x1802E128
.long 0xD3B2402A, 0x1802E52A
.long 0xD3B2402C, 0x1802E92C
.long 0xD3B2402E, 0x1802ED2E
.long 0xBF8C0F7B
	;; [unrolled: 5-line block ×14, first 2 shown]
.long 0xBF8C0F7C
.long 0xD3B24028, 0x1802D128
.long 0xD3B2402A, 0x1802D52A
.long 0xD3B2402C, 0x1802D92C
.long 0xD3B2402E, 0x1802DD2E
.long 0xBF8C0F7B
.long 0xD3B24028, 0x1802E128
.long 0xD3B2402A, 0x1802E52A
.long 0xD3B2402C, 0x1802E92C
.long 0xD3B2402E, 0x1802ED2E
	;; [unrolled: 5-line block ×13, first 2 shown]
.long 0xBF8202CA
.long 0xBF8C0F7B
.long 0xD3B24028, 0x1802D128
.long 0xD3B2402A, 0x1802D52A
.long 0xD3B2402C, 0x1802D92C
.long 0xD3B2402E, 0x1802DD2E
.long 0xBF8C0F7A
.long 0xD3B24028, 0x1802E128
.long 0xD3B2402A, 0x1802E52A
.long 0xD3B2402C, 0x1802E92C
.long 0xD3B2402E, 0x1802ED2E
	;; [unrolled: 5-line block ×12, first 2 shown]
.long 0xBF82025D
.long 0xBF8C0F7A
.long 0xD3B24028, 0x1802D128
.long 0xD3B2402A, 0x1802D52A
.long 0xD3B2402C, 0x1802D92C
.long 0xD3B2402E, 0x1802DD2E
.long 0xBF8C0F79
.long 0xD3B24028, 0x1802E128
.long 0xD3B2402A, 0x1802E52A
.long 0xD3B2402C, 0x1802E92C
.long 0xD3B2402E, 0x1802ED2E
	;; [unrolled: 5-line block ×11, first 2 shown]
.long 0xBF8201F9
.long 0xBF8C0F79
.long 0xD3B24028, 0x1802D128
.long 0xD3B2402A, 0x1802D52A
.long 0xD3B2402C, 0x1802D92C
.long 0xD3B2402E, 0x1802DD2E
.long 0xBF8C0F78
.long 0xD3B24028, 0x1802E128
.long 0xD3B2402A, 0x1802E52A
.long 0xD3B2402C, 0x1802E92C
.long 0xD3B2402E, 0x1802ED2E
	;; [unrolled: 5-line block ×10, first 2 shown]
.long 0xBF82019E
.long 0xBF8C0F78
.long 0xD3B24028, 0x1802D128
.long 0xD3B2402A, 0x1802D52A
.long 0xD3B2402C, 0x1802D92C
.long 0xD3B2402E, 0x1802DD2E
.long 0xBF8C0F77
.long 0xD3B24028, 0x1802E128
.long 0xD3B2402A, 0x1802E52A
.long 0xD3B2402C, 0x1802E92C
.long 0xD3B2402E, 0x1802ED2E
	;; [unrolled: 5-line block ×9, first 2 shown]
.long 0xBF82014C
.long 0xBF8C0F77
.long 0xD3B24028, 0x1802D128
.long 0xD3B2402A, 0x1802D52A
.long 0xD3B2402C, 0x1802D92C
.long 0xD3B2402E, 0x1802DD2E
.long 0xBF8C0F76
.long 0xD3B24028, 0x1802E128
.long 0xD3B2402A, 0x1802E52A
.long 0xD3B2402C, 0x1802E92C
.long 0xD3B2402E, 0x1802ED2E
	;; [unrolled: 5-line block ×8, first 2 shown]
.long 0xBF820103
.long 0xBF8C0F76
.long 0xD3B24028, 0x1802D128
.long 0xD3B2402A, 0x1802D52A
.long 0xD3B2402C, 0x1802D92C
.long 0xD3B2402E, 0x1802DD2E
.long 0xBF8C0F75
.long 0xD3B24028, 0x1802E128
.long 0xD3B2402A, 0x1802E52A
.long 0xD3B2402C, 0x1802E92C
.long 0xD3B2402E, 0x1802ED2E
	;; [unrolled: 5-line block ×7, first 2 shown]
.long 0xBF8200C3
.long 0xBF8C0F75
.long 0xD3B24028, 0x1802D128
.long 0xD3B2402A, 0x1802D52A
.long 0xD3B2402C, 0x1802D92C
.long 0xD3B2402E, 0x1802DD2E
.long 0xBF8C0F74
.long 0xD3B24028, 0x1802E128
.long 0xD3B2402A, 0x1802E52A
.long 0xD3B2402C, 0x1802E92C
.long 0xD3B2402E, 0x1802ED2E
	;; [unrolled: 5-line block ×6, first 2 shown]
.long 0xBF82008C
.long 0xBF8C0F74
.long 0xD3B24028, 0x1802D128
.long 0xD3B2402A, 0x1802D52A
.long 0xD3B2402C, 0x1802D92C
.long 0xD3B2402E, 0x1802DD2E
.long 0xBF8C0F73
.long 0xD3B24028, 0x1802E128
.long 0xD3B2402A, 0x1802E52A
.long 0xD3B2402C, 0x1802E92C
.long 0xD3B2402E, 0x1802ED2E
	;; [unrolled: 5-line block ×5, first 2 shown]
.long 0xBF82005E
.long 0xBF8C0F73
.long 0xD3B24028, 0x1802D128
.long 0xD3B2402A, 0x1802D52A
.long 0xD3B2402C, 0x1802D92C
.long 0xD3B2402E, 0x1802DD2E
.long 0xBF8C0F72
.long 0xD3B24028, 0x1802E128
.long 0xD3B2402A, 0x1802E52A
.long 0xD3B2402C, 0x1802E92C
.long 0xD3B2402E, 0x1802ED2E
	;; [unrolled: 5-line block ×4, first 2 shown]
.long 0xBF820039
.long 0xBF8C0F72
.long 0xD3B24028, 0x1802D128
.long 0xD3B2402A, 0x1802D52A
.long 0xD3B2402C, 0x1802D92C
.long 0xD3B2402E, 0x1802DD2E
.long 0xBF8C0F71
.long 0xD3B24028, 0x1802E128
.long 0xD3B2402A, 0x1802E52A
.long 0xD3B2402C, 0x1802E92C
.long 0xD3B2402E, 0x1802ED2E
	;; [unrolled: 5-line block ×3, first 2 shown]
.long 0xBF82001D
.long 0xBF8C0F71
.long 0xD3B24028, 0x1802D128
.long 0xD3B2402A, 0x1802D52A
	;; [unrolled: 1-line block ×4, first 2 shown]
.long 0xBF8C0F70
.long 0xD3B24028, 0x1802E128
.long 0xD3B2402A, 0x1802E52A
.long 0xD3B2402C, 0x1802E92C
.long 0xD3B2402E, 0x1802ED2E
.long 0xBF82000A
.long 0xBF8C0F70
.long 0xD3B24028, 0x1802D128
.long 0xD3B2402A, 0x1802D52A
	;; [unrolled: 1-line block ×4, first 2 shown]
.long 0xBF820000
.long 0x0A505030
	;; [unrolled: 1-line block ×9, first 2 shown]
.long 0xD0CC0038, 0x0001004A
.long 0xD1000020, 0x00E240F2
	;; [unrolled: 1-line block ×30, first 2 shown]
.long 0x0A080928
.long 0x0A0808FF, 0x40135761
.long 0x7E084104
.long 0xBF800000
.long 0x020808F2
.long 0x7E084504
.long 0xBF800000
.long 0xD1CB0004, 0x03D208F5
.long 0x0A080928
.long 0x0A0808F0
.long 0x0A50083E
.long 0x0A0852FF, 0x3D372713
.long 0xD1CB0004, 0x03CA0929
.long 0x0A080929
.long 0x0A0808FF, 0x40135761
.long 0x7E084104
.long 0xBF800000
.long 0x020808F2
.long 0x7E084504
.long 0xBF800000
.long 0xD1CB0004, 0x03D208F5
.long 0x0A080929
.long 0x0A0808F0
.long 0x0A52083E
.long 0x0A0854FF, 0x3D372713
.long 0xD1CB0004, 0x03CA092A
	;; [unrolled: 13-line block ×7, first 2 shown]
.long 0x0A08092F
.long 0x0A0808FF, 0x40135761
.long 0x7E084104
.long 0xBF800000
	;; [unrolled: 1-line block ×5, first 2 shown]
.long 0xD1CB0004, 0x03D208F5
.long 0x0A08092F
.long 0x0A0808F0
	;; [unrolled: 1-line block ×5, first 2 shown]
.long 0xD2A00028, 0x00025328
.long 0x7E54152A
.long 0x7E56152B
.long 0xD2A00029, 0x0002572A
.long 0x7E58152C
.long 0x7E5A152D
	;; [unrolled: 3-line block ×3, first 2 shown]
.long 0xD2A0002B, 0x00025F2E
.long 0xE07CD000, 0x80142807
.long 0xBF800000
.long 0xBF800000
	;; [unrolled: 1-line block ×3, first 2 shown]
.long 0x815684FF, 0x0002A118
.long 0x80545654
.long 0x82558055
	;; [unrolled: 1-line block ×16, first 2 shown]
.long 0x815684FF, 0x000174FC
.long 0x80545654
.long 0x82558055
.long 0xBE801D54
.long 0xB4400006
.long 0xBF840006
.long 0xBED41C00
.long 0x815684FF, 0x0001BEF8
.long 0x80545654
.long 0x82558055
.long 0xBE801D54
.long 0xB4400007
.long 0xBF840006
.long 0xBED41C00
	;; [unrolled: 7-line block ×3, first 2 shown]
.long 0x815684FF, 0x00025488
.long 0x80545654
.long 0x82558055
	;; [unrolled: 1-line block ×3, first 2 shown]
.long 0x7E8C02FF, 0x80000000
.long 0xD0C90054, 0x00003900
	;; [unrolled: 1-line block ×3, first 2 shown]
.long 0x86D85854
.long 0xD1FE0006, 0x02060102
.long 0xD1000006, 0x01620D46
	;; [unrolled: 1-line block ×5, first 2 shown]
.long 0x24101082
.long 0xD1000008, 0x01621146
.long 0xBF8CC07F
.long 0xBF8A0000
.long 0xD86C0000, 0x0B000008
.long 0x24120082
.long 0xE0501000, 0x80120C09
.long 0xD1FE0006, 0x020A0103
.long 0xD1000006, 0x01620D46
.long 0xD1FE0007, 0x02060103
.long 0xD1000007, 0x01620F46
.long 0xD1196A04, 0x00010300
.long 0xD0C90054, 0x00003904
.long 0xD0C90058, 0x00003B01
.long 0x86D85854
.long 0xD1FE000E, 0x02060902
.long 0xD100000E, 0x01621D46
.long 0xE0941000, 0x8004120E
.long 0x925402FF, 0x00000080
.long 0xD1350010, 0x0000A904
.long 0x24202082
.long 0xD1000010, 0x01622146
.long 0xD86C0000, 0x13000010
.long 0x24220882
.long 0xE0501000, 0x80121411
.long 0xD1FE000E, 0x020A0903
.long 0xD100000E, 0x01621D46
.long 0xD1FE000F, 0x02060903
.long 0xD100000F, 0x01621F46
.long 0xD1196A04, 0x00010500
.long 0xD0C90054, 0x00003904
.long 0xD0C90058, 0x00003B01
.long 0x86D85854
.long 0xD1FE0016, 0x02060902
.long 0xD1000016, 0x01622D46
.long 0xE0901000, 0x80041A16
.long 0x925402FF, 0x00000080
.long 0xD1350018, 0x0000A904
.long 0x24303082
.long 0xD1000018, 0x01623146
	;; [unrolled: 18-line block ×7, first 2 shown]
.long 0xD86C0000, 0x43000040
.long 0x24820882
.long 0xE0501000, 0x80124441
.long 0xD1FE003E, 0x020A0903
.long 0xD100003E, 0x01627D46
.long 0xD1FE003F, 0x02060903
.long 0xD100003F, 0x01627F46
.long 0xD3D8400D, 0x18000100
.long 0xD3D84015, 0x18000104
.long 0xD3D8401D, 0x18000101
.long 0xD3D84025, 0x18000105
.long 0xD3D8402D, 0x18000102
.long 0xD3D84035, 0x18000106
.long 0xD3D8403D, 0x18000103
.long 0xD3D84045, 0x18000107
.long 0xBF800001
.long 0xE070D000, 0x80030D06
.long 0xE070D000, 0x8003150E
	;; [unrolled: 1-line block ×8, first 2 shown]
.long 0xBF800000
.long 0x92421415
	;; [unrolled: 1-line block ×16, first 2 shown]
.long 0xC2330CCC, 0x00000000
.long 0x965F811C
.long 0x925E811C
	;; [unrolled: 1-line block ×15, first 2 shown]
.long 0x7E8C02FF, 0x80000000
.long 0xBEE00016
.long 0xBEE10017
	;; [unrolled: 1-line block ×7, first 2 shown]
.long 0xE050D000, 0x80180D06
.long 0xBE850032
.long 0x81858105
	;; [unrolled: 1-line block ×6, first 2 shown]
.long 0xE050D000, 0x80186806
.long 0x81858105
.long 0x80605A60
.long 0x82615B61
.long 0xBF008005
.long 0xBF8501FF
.long 0xE050D000, 0x80187006
.long 0x81858105
.long 0x80605A60
.long 0x82615B61
.long 0xBF008005
.long 0xBF8501F3
	;; [unrolled: 6-line block ×15, first 2 shown]
.long 0x80605A60
.long 0x82615B61
.long 0xD0C6005C, 0x00000A80
.long 0xD1000047, 0x01728D06
.long 0xE050D000, 0x80186847
.long 0xBF8C0F7E
.long 0x021AE10D
.long 0x81858105
.long 0xBF05CE05
.long 0xBF850193
.long 0x80605A60
.long 0x82615B61
.long 0xD0C6005C, 0x00000A80
.long 0xD1000047, 0x01728D06
.long 0xE050D000, 0x80187047
.long 0xBF8C0F7E
.long 0x021AF10D
.long 0x81858105
.long 0xBF05CE05
.long 0xBF850186
.long 0x80605A60
.long 0x82615B61
.long 0xD0C6005C, 0x00000A80
.long 0xD1000047, 0x01728D06
.long 0xE050D000, 0x80187847
.long 0xBF8C0F7E
.long 0x021B010D
.long 0x81858105
.long 0xBF05CE05
.long 0xBF850179
.long 0x80605A60
.long 0x82615B61
.long 0xD0C6005C, 0x00000A80
.long 0xD1000047, 0x01728D06
.long 0xE050D000, 0x80188047
.long 0xBF8C0F7E
.long 0x021B110D
.long 0x81858105
.long 0xBF05CE05
.long 0xBF85016C
.long 0x80605A60
.long 0x82615B61
.long 0xD0C6005C, 0x00000A80
.long 0xD1000047, 0x01728D06
.long 0xE050D000, 0x80188847
.long 0xBF8C0F7E
.long 0x021B210D
.long 0x81858105
.long 0xBF05CE05
.long 0xBF85015F
.long 0x80605A60
.long 0x82615B61
.long 0xD0C6005C, 0x00000A80
.long 0xD1000047, 0x01728D06
.long 0xE050D000, 0x80189047
.long 0xBF8C0F7E
.long 0x021B310D
.long 0x81858105
.long 0xBF05CE05
.long 0xBF850152
.long 0x80605A60
.long 0x82615B61
.long 0xD0C6005C, 0x00000A80
.long 0xD1000047, 0x01728D06
.long 0xE050D000, 0x80189847
.long 0xBF8C0F7E
.long 0x021B410D
.long 0x81858105
.long 0xBF05CE05
.long 0xBF850145
.long 0x80605A60
.long 0x82615B61
.long 0xD0C6005C, 0x00000A80
.long 0xD1000047, 0x01728D06
.long 0xE050D000, 0x8018A047
.long 0xBF8C0F7E
.long 0x021B510D
.long 0x81858105
.long 0xBF05CE05
.long 0xBF850138
.long 0x80605A60
.long 0x82615B61
.long 0xD0C6005C, 0x00000A80
.long 0xD1000047, 0x01728D06
.long 0xE050D000, 0x8018A847
.long 0xBF8C0F7E
.long 0x021B610D
.long 0x81858105
.long 0xBF05CE05
.long 0xBF85012B
.long 0x80605A60
.long 0x82615B61
.long 0xD0C6005C, 0x00000A80
.long 0xD1000047, 0x01728D06
.long 0xE050D000, 0x8018B047
.long 0xBF8C0F7E
.long 0x021B710D
.long 0x81858105
.long 0xBF05CE05
.long 0xBF85011E
.long 0x80605A60
.long 0x82615B61
.long 0xD0C6005C, 0x00000A80
.long 0xD1000047, 0x01728D06
.long 0xE050D000, 0x8018B847
.long 0xBF8C0F7E
.long 0x021B810D
.long 0x81858105
.long 0xBF05CE05
.long 0xBF850111
.long 0x80605A60
.long 0x82615B61
.long 0xD0C6005C, 0x00000A80
.long 0xD1000047, 0x01728D06
.long 0xE050D000, 0x8018C047
.long 0xBF8C0F7E
.long 0x021B910D
.long 0x81858105
.long 0xBF05CE05
.long 0xBF850104
.long 0x80605A60
.long 0x82615B61
.long 0xD0C6005C, 0x00000A80
.long 0xD1000047, 0x01728D06
.long 0xE050D000, 0x8018C847
.long 0xBF8C0F7E
.long 0x021BA10D
.long 0x81858105
.long 0xBF05CE05
.long 0xBF8500F7
.long 0x80605A60
.long 0x82615B61
.long 0xD0C6005C, 0x00000A80
.long 0xD1000047, 0x01728D06
.long 0xE050D000, 0x8018D047
.long 0xBF8C0F7E
.long 0x021BB10D
.long 0x81858105
.long 0xBF05CE05
.long 0xBF8500EA
.long 0x80605A60
.long 0x82615B61
.long 0xD0C6005C, 0x00000A80
.long 0xD1000047, 0x01728D06
.long 0xE050D000, 0x8018D847
.long 0xBF02CE05
.long 0xBF85FF3B
.long 0xBF8C0F7D
.long 0x021AD10D
.long 0xBF8C0F7C
.long 0x021AE10D
.long 0xBF8C0F7B
.long 0x021AF10D
.long 0xBF8C0F7A
.long 0x021B010D
.long 0xBF8C0F79
.long 0x021B110D
.long 0xBF8C0F78
.long 0x021B210D
.long 0xBF8C0F77
.long 0x021B310D
.long 0xBF8C0F76
.long 0x021B410D
.long 0xBF8C0F75
.long 0x021B510D
.long 0xBF8C0F74
.long 0x021B610D
.long 0xBF8C0F73
.long 0x021B710D
.long 0xBF8C0F72
.long 0x021B810D
.long 0xBF8C0F71
.long 0x021B910D
.long 0xBF8C0F70
.long 0x021BA10D
.long 0xBF8200C3
.long 0xBF8C0F7C
.long 0x021AD10D
.long 0xBF8C0F7B
.long 0x021AE10D
.long 0xBF8C0F7A
.long 0x021AF10D
.long 0xBF8C0F79
.long 0x021B010D
.long 0xBF8C0F78
.long 0x021B110D
.long 0xBF8C0F77
.long 0x021B210D
.long 0xBF8C0F76
.long 0x021B310D
.long 0xBF8C0F75
.long 0x021B410D
.long 0xBF8C0F74
.long 0x021B510D
.long 0xBF8C0F73
.long 0x021B610D
.long 0xBF8C0F72
.long 0x021B710D
.long 0xBF8C0F71
.long 0x021B810D
.long 0xBF8C0F70
.long 0x021B910D
.long 0xBF8200A8
.long 0xBF8C0F7B
.long 0x021AD10D
.long 0xBF8C0F7A
.long 0x021AE10D
.long 0xBF8C0F79
.long 0x021AF10D
.long 0xBF8C0F78
.long 0x021B010D
.long 0xBF8C0F77
.long 0x021B110D
.long 0xBF8C0F76
.long 0x021B210D
.long 0xBF8C0F75
.long 0x021B310D
.long 0xBF8C0F74
.long 0x021B410D
.long 0xBF8C0F73
.long 0x021B510D
.long 0xBF8C0F72
.long 0x021B610D
.long 0xBF8C0F71
.long 0x021B710D
.long 0xBF8C0F70
.long 0x021B810D
.long 0xBF82008F
.long 0xBF8C0F7A
.long 0x021AD10D
.long 0xBF8C0F79
.long 0x021AE10D
.long 0xBF8C0F78
.long 0x021AF10D
.long 0xBF8C0F77
.long 0x021B010D
.long 0xBF8C0F76
.long 0x021B110D
.long 0xBF8C0F75
.long 0x021B210D
.long 0xBF8C0F74
.long 0x021B310D
.long 0xBF8C0F73
.long 0x021B410D
.long 0xBF8C0F72
.long 0x021B510D
.long 0xBF8C0F71
.long 0x021B610D
.long 0xBF8C0F70
.long 0x021B710D
.long 0xBF820078
.long 0xBF8C0F79
.long 0x021AD10D
.long 0xBF8C0F78
.long 0x021AE10D
.long 0xBF8C0F77
.long 0x021AF10D
.long 0xBF8C0F76
.long 0x021B010D
.long 0xBF8C0F75
.long 0x021B110D
.long 0xBF8C0F74
.long 0x021B210D
.long 0xBF8C0F73
.long 0x021B310D
.long 0xBF8C0F72
.long 0x021B410D
.long 0xBF8C0F71
.long 0x021B510D
.long 0xBF8C0F70
.long 0x021B610D
.long 0xBF820063
.long 0xBF8C0F78
.long 0x021AD10D
.long 0xBF8C0F77
.long 0x021AE10D
.long 0xBF8C0F76
.long 0x021AF10D
.long 0xBF8C0F75
.long 0x021B010D
.long 0xBF8C0F74
.long 0x021B110D
.long 0xBF8C0F73
.long 0x021B210D
.long 0xBF8C0F72
.long 0x021B310D
.long 0xBF8C0F71
.long 0x021B410D
.long 0xBF8C0F70
.long 0x021B510D
.long 0xBF820050
.long 0xBF8C0F77
.long 0x021AD10D
.long 0xBF8C0F76
.long 0x021AE10D
.long 0xBF8C0F75
.long 0x021AF10D
.long 0xBF8C0F74
.long 0x021B010D
.long 0xBF8C0F73
.long 0x021B110D
.long 0xBF8C0F72
.long 0x021B210D
.long 0xBF8C0F71
.long 0x021B310D
.long 0xBF8C0F70
.long 0x021B410D
.long 0xBF82003F
.long 0xBF8C0F76
.long 0x021AD10D
.long 0xBF8C0F75
.long 0x021AE10D
.long 0xBF8C0F74
.long 0x021AF10D
.long 0xBF8C0F73
.long 0x021B010D
.long 0xBF8C0F72
.long 0x021B110D
.long 0xBF8C0F71
.long 0x021B210D
.long 0xBF8C0F70
.long 0x021B310D
.long 0xBF820030
.long 0xBF8C0F75
.long 0x021AD10D
.long 0xBF8C0F74
.long 0x021AE10D
.long 0xBF8C0F73
.long 0x021AF10D
.long 0xBF8C0F72
.long 0x021B010D
.long 0xBF8C0F71
.long 0x021B110D
.long 0xBF8C0F70
.long 0x021B210D
.long 0xBF820023
.long 0xBF8C0F74
.long 0x021AD10D
.long 0xBF8C0F73
.long 0x021AE10D
.long 0xBF8C0F72
.long 0x021AF10D
.long 0xBF8C0F71
.long 0x021B010D
.long 0xBF8C0F70
.long 0x021B110D
.long 0xBF820018
.long 0xBF8C0F73
.long 0x021AD10D
.long 0xBF8C0F72
.long 0x021AE10D
.long 0xBF8C0F71
.long 0x021AF10D
.long 0xBF8C0F70
.long 0x021B010D
.long 0xBF82000F
.long 0xBF8C0F72
.long 0x021AD10D
.long 0xBF8C0F71
.long 0x021AE10D
.long 0xBF8C0F70
.long 0x021AF10D
.long 0xBF820008
.long 0xBF8C0F71
.long 0x021AD10D
.long 0xBF8C0F70
.long 0x021AE10D
.long 0xBF820003
.long 0xBF8C0F70
.long 0x021AD10D
.long 0xBF820000
.long 0x7E8C02FF, 0x80000000
.long 0xBEE00016
.long 0xBEE10017
	;; [unrolled: 1-line block ×4, first 2 shown]
.long 0xE050D000, 0x8018150E
.long 0xBE850032
.long 0x81858105
	;; [unrolled: 1-line block ×6, first 2 shown]
.long 0xE050D000, 0x8018680E
.long 0x81858105
.long 0x80605A60
.long 0x82615B61
.long 0xBF008005
.long 0xBF8501FF
.long 0xE050D000, 0x8018700E
.long 0x81858105
.long 0x80605A60
.long 0x82615B61
.long 0xBF008005
.long 0xBF8501F3
	;; [unrolled: 6-line block ×15, first 2 shown]
.long 0x80605A60
.long 0x82615B61
.long 0xD0C6005C, 0x00000A80
.long 0xD1000047, 0x01728D0E
.long 0xE050D000, 0x80186847
.long 0xBF8C0F7E
.long 0x022AE115
.long 0x81858105
.long 0xBF05CE05
.long 0xBF850193
.long 0x80605A60
.long 0x82615B61
.long 0xD0C6005C, 0x00000A80
.long 0xD1000047, 0x01728D0E
.long 0xE050D000, 0x80187047
.long 0xBF8C0F7E
.long 0x022AF115
.long 0x81858105
.long 0xBF05CE05
.long 0xBF850186
	;; [unrolled: 10-line block ×15, first 2 shown]
.long 0x022AE115
.long 0xBF8C0F7B
.long 0x022AF115
.long 0xBF8C0F7A
.long 0x022B0115
.long 0xBF8C0F79
.long 0x022B1115
.long 0xBF8C0F78
.long 0x022B2115
.long 0xBF8C0F77
.long 0x022B3115
.long 0xBF8C0F76
.long 0x022B4115
.long 0xBF8C0F75
.long 0x022B5115
.long 0xBF8C0F74
.long 0x022B6115
.long 0xBF8C0F73
.long 0x022B7115
.long 0xBF8C0F72
.long 0x022B8115
.long 0xBF8C0F71
.long 0x022B9115
.long 0xBF8C0F70
.long 0x022BA115
.long 0xBF8200C3
.long 0xBF8C0F7C
.long 0x022AD115
.long 0xBF8C0F7B
.long 0x022AE115
.long 0xBF8C0F7A
.long 0x022AF115
.long 0xBF8C0F79
.long 0x022B0115
.long 0xBF8C0F78
.long 0x022B1115
.long 0xBF8C0F77
.long 0x022B2115
.long 0xBF8C0F76
.long 0x022B3115
.long 0xBF8C0F75
.long 0x022B4115
.long 0xBF8C0F74
.long 0x022B5115
.long 0xBF8C0F73
.long 0x022B6115
.long 0xBF8C0F72
.long 0x022B7115
.long 0xBF8C0F71
.long 0x022B8115
.long 0xBF8C0F70
.long 0x022B9115
.long 0xBF8200A8
.long 0xBF8C0F7B
.long 0x022AD115
.long 0xBF8C0F7A
.long 0x022AE115
.long 0xBF8C0F79
.long 0x022AF115
.long 0xBF8C0F78
.long 0x022B0115
.long 0xBF8C0F77
.long 0x022B1115
.long 0xBF8C0F76
.long 0x022B2115
.long 0xBF8C0F75
.long 0x022B3115
.long 0xBF8C0F74
.long 0x022B4115
.long 0xBF8C0F73
.long 0x022B5115
.long 0xBF8C0F72
.long 0x022B6115
.long 0xBF8C0F71
.long 0x022B7115
.long 0xBF8C0F70
.long 0x022B8115
.long 0xBF82008F
.long 0xBF8C0F7A
.long 0x022AD115
.long 0xBF8C0F79
.long 0x022AE115
.long 0xBF8C0F78
.long 0x022AF115
.long 0xBF8C0F77
.long 0x022B0115
.long 0xBF8C0F76
.long 0x022B1115
.long 0xBF8C0F75
.long 0x022B2115
.long 0xBF8C0F74
.long 0x022B3115
.long 0xBF8C0F73
.long 0x022B4115
.long 0xBF8C0F72
.long 0x022B5115
.long 0xBF8C0F71
.long 0x022B6115
.long 0xBF8C0F70
.long 0x022B7115
.long 0xBF820078
.long 0xBF8C0F79
.long 0x022AD115
.long 0xBF8C0F78
.long 0x022AE115
.long 0xBF8C0F77
.long 0x022AF115
.long 0xBF8C0F76
.long 0x022B0115
.long 0xBF8C0F75
.long 0x022B1115
.long 0xBF8C0F74
.long 0x022B2115
.long 0xBF8C0F73
.long 0x022B3115
.long 0xBF8C0F72
.long 0x022B4115
.long 0xBF8C0F71
.long 0x022B5115
.long 0xBF8C0F70
.long 0x022B6115
.long 0xBF820063
.long 0xBF8C0F78
.long 0x022AD115
.long 0xBF8C0F77
.long 0x022AE115
.long 0xBF8C0F76
.long 0x022AF115
.long 0xBF8C0F75
.long 0x022B0115
.long 0xBF8C0F74
.long 0x022B1115
.long 0xBF8C0F73
.long 0x022B2115
.long 0xBF8C0F72
.long 0x022B3115
.long 0xBF8C0F71
.long 0x022B4115
.long 0xBF8C0F70
.long 0x022B5115
.long 0xBF820050
.long 0xBF8C0F77
.long 0x022AD115
.long 0xBF8C0F76
.long 0x022AE115
.long 0xBF8C0F75
.long 0x022AF115
.long 0xBF8C0F74
.long 0x022B0115
.long 0xBF8C0F73
.long 0x022B1115
.long 0xBF8C0F72
.long 0x022B2115
.long 0xBF8C0F71
.long 0x022B3115
.long 0xBF8C0F70
.long 0x022B4115
.long 0xBF82003F
.long 0xBF8C0F76
.long 0x022AD115
.long 0xBF8C0F75
.long 0x022AE115
.long 0xBF8C0F74
.long 0x022AF115
.long 0xBF8C0F73
.long 0x022B0115
.long 0xBF8C0F72
.long 0x022B1115
.long 0xBF8C0F71
.long 0x022B2115
.long 0xBF8C0F70
.long 0x022B3115
.long 0xBF820030
.long 0xBF8C0F75
.long 0x022AD115
.long 0xBF8C0F74
.long 0x022AE115
.long 0xBF8C0F73
.long 0x022AF115
.long 0xBF8C0F72
.long 0x022B0115
.long 0xBF8C0F71
.long 0x022B1115
.long 0xBF8C0F70
.long 0x022B2115
.long 0xBF820023
.long 0xBF8C0F74
.long 0x022AD115
.long 0xBF8C0F73
.long 0x022AE115
.long 0xBF8C0F72
.long 0x022AF115
.long 0xBF8C0F71
.long 0x022B0115
.long 0xBF8C0F70
.long 0x022B1115
.long 0xBF820018
.long 0xBF8C0F73
.long 0x022AD115
.long 0xBF8C0F72
.long 0x022AE115
.long 0xBF8C0F71
.long 0x022AF115
.long 0xBF8C0F70
.long 0x022B0115
.long 0xBF82000F
.long 0xBF8C0F72
.long 0x022AD115
.long 0xBF8C0F71
.long 0x022AE115
.long 0xBF8C0F70
.long 0x022AF115
.long 0xBF820008
.long 0xBF8C0F71
.long 0x022AD115
.long 0xBF8C0F70
.long 0x022AE115
.long 0xBF820003
.long 0xBF8C0F70
.long 0x022AD115
.long 0xBF820000
.long 0x7E8C02FF, 0x80000000
.long 0xBEE00016
.long 0xBEE10017
.long 0xBEE2000E
.long 0xBEE3000F
.long 0xE050D000, 0x80181D16
.long 0xBE850032
.long 0x81858105
.long 0x80605A60
.long 0x82615B61
.long 0xBF008005
.long 0xBF850209
.long 0xE050D000, 0x80186816
.long 0x81858105
.long 0x80605A60
.long 0x82615B61
.long 0xBF008005
.long 0xBF8501FF
.long 0xE050D000, 0x80187016
.long 0x81858105
.long 0x80605A60
.long 0x82615B61
.long 0xBF008005
.long 0xBF8501F3
	;; [unrolled: 6-line block ×15, first 2 shown]
.long 0x80605A60
.long 0x82615B61
.long 0xD0C6005C, 0x00000A80
.long 0xD1000047, 0x01728D16
.long 0xE050D000, 0x80186847
.long 0xBF8C0F7E
.long 0x023AE11D
.long 0x81858105
.long 0xBF05CE05
.long 0xBF850193
.long 0x80605A60
.long 0x82615B61
.long 0xD0C6005C, 0x00000A80
.long 0xD1000047, 0x01728D16
.long 0xE050D000, 0x80187047
.long 0xBF8C0F7E
.long 0x023AF11D
.long 0x81858105
.long 0xBF05CE05
.long 0xBF850186
	;; [unrolled: 10-line block ×15, first 2 shown]
.long 0x023AE11D
.long 0xBF8C0F7B
	;; [unrolled: 1-line block ×221, first 2 shown]
.long 0x7E8C02FF, 0x80000000
.long 0xBEE00016
.long 0xBEE10017
.long 0xBEE2000E
.long 0xBEE3000F
.long 0xE050D000, 0x8018251E
.long 0xBE850032
.long 0x81858105
	;; [unrolled: 1-line block ×6, first 2 shown]
.long 0xE050D000, 0x8018681E
.long 0x81858105
.long 0x80605A60
.long 0x82615B61
.long 0xBF008005
.long 0xBF8501FF
.long 0xE050D000, 0x8018701E
.long 0x81858105
.long 0x80605A60
.long 0x82615B61
.long 0xBF008005
.long 0xBF8501F3
	;; [unrolled: 6-line block ×15, first 2 shown]
.long 0x80605A60
.long 0x82615B61
.long 0xD0C6005C, 0x00000A80
.long 0xD1000047, 0x01728D1E
.long 0xE050D000, 0x80186847
.long 0xBF8C0F7E
.long 0x024AE125
.long 0x81858105
.long 0xBF05CE05
.long 0xBF850193
.long 0x80605A60
.long 0x82615B61
.long 0xD0C6005C, 0x00000A80
.long 0xD1000047, 0x01728D1E
.long 0xE050D000, 0x80187047
.long 0xBF8C0F7E
.long 0x024AF125
.long 0x81858105
.long 0xBF05CE05
.long 0xBF850186
	;; [unrolled: 10-line block ×15, first 2 shown]
.long 0x024AE125
.long 0xBF8C0F7B
.long 0x024AF125
.long 0xBF8C0F7A
.long 0x024B0125
.long 0xBF8C0F79
.long 0x024B1125
.long 0xBF8C0F78
.long 0x024B2125
.long 0xBF8C0F77
.long 0x024B3125
.long 0xBF8C0F76
.long 0x024B4125
.long 0xBF8C0F75
.long 0x024B5125
.long 0xBF8C0F74
.long 0x024B6125
.long 0xBF8C0F73
.long 0x024B7125
.long 0xBF8C0F72
.long 0x024B8125
.long 0xBF8C0F71
.long 0x024B9125
.long 0xBF8C0F70
.long 0x024BA125
.long 0xBF8200C3
.long 0xBF8C0F7C
.long 0x024AD125
.long 0xBF8C0F7B
.long 0x024AE125
.long 0xBF8C0F7A
.long 0x024AF125
.long 0xBF8C0F79
.long 0x024B0125
.long 0xBF8C0F78
.long 0x024B1125
.long 0xBF8C0F77
.long 0x024B2125
.long 0xBF8C0F76
.long 0x024B3125
.long 0xBF8C0F75
.long 0x024B4125
.long 0xBF8C0F74
.long 0x024B5125
.long 0xBF8C0F73
.long 0x024B6125
.long 0xBF8C0F72
.long 0x024B7125
.long 0xBF8C0F71
.long 0x024B8125
.long 0xBF8C0F70
.long 0x024B9125
.long 0xBF8200A8
.long 0xBF8C0F7B
.long 0x024AD125
.long 0xBF8C0F7A
.long 0x024AE125
.long 0xBF8C0F79
.long 0x024AF125
.long 0xBF8C0F78
.long 0x024B0125
.long 0xBF8C0F77
.long 0x024B1125
.long 0xBF8C0F76
.long 0x024B2125
.long 0xBF8C0F75
.long 0x024B3125
.long 0xBF8C0F74
.long 0x024B4125
.long 0xBF8C0F73
.long 0x024B5125
.long 0xBF8C0F72
.long 0x024B6125
.long 0xBF8C0F71
.long 0x024B7125
.long 0xBF8C0F70
.long 0x024B8125
.long 0xBF82008F
.long 0xBF8C0F7A
.long 0x024AD125
.long 0xBF8C0F79
.long 0x024AE125
.long 0xBF8C0F78
.long 0x024AF125
.long 0xBF8C0F77
.long 0x024B0125
.long 0xBF8C0F76
.long 0x024B1125
.long 0xBF8C0F75
.long 0x024B2125
.long 0xBF8C0F74
.long 0x024B3125
.long 0xBF8C0F73
.long 0x024B4125
.long 0xBF8C0F72
.long 0x024B5125
.long 0xBF8C0F71
.long 0x024B6125
.long 0xBF8C0F70
.long 0x024B7125
.long 0xBF820078
.long 0xBF8C0F79
.long 0x024AD125
.long 0xBF8C0F78
.long 0x024AE125
.long 0xBF8C0F77
.long 0x024AF125
.long 0xBF8C0F76
.long 0x024B0125
.long 0xBF8C0F75
.long 0x024B1125
.long 0xBF8C0F74
.long 0x024B2125
.long 0xBF8C0F73
.long 0x024B3125
.long 0xBF8C0F72
.long 0x024B4125
.long 0xBF8C0F71
.long 0x024B5125
.long 0xBF8C0F70
.long 0x024B6125
.long 0xBF820063
.long 0xBF8C0F78
.long 0x024AD125
.long 0xBF8C0F77
.long 0x024AE125
.long 0xBF8C0F76
.long 0x024AF125
.long 0xBF8C0F75
.long 0x024B0125
.long 0xBF8C0F74
.long 0x024B1125
.long 0xBF8C0F73
.long 0x024B2125
.long 0xBF8C0F72
.long 0x024B3125
.long 0xBF8C0F71
.long 0x024B4125
.long 0xBF8C0F70
.long 0x024B5125
.long 0xBF820050
.long 0xBF8C0F77
.long 0x024AD125
.long 0xBF8C0F76
.long 0x024AE125
.long 0xBF8C0F75
.long 0x024AF125
.long 0xBF8C0F74
.long 0x024B0125
.long 0xBF8C0F73
.long 0x024B1125
.long 0xBF8C0F72
.long 0x024B2125
.long 0xBF8C0F71
.long 0x024B3125
.long 0xBF8C0F70
.long 0x024B4125
.long 0xBF82003F
.long 0xBF8C0F76
.long 0x024AD125
.long 0xBF8C0F75
.long 0x024AE125
.long 0xBF8C0F74
.long 0x024AF125
.long 0xBF8C0F73
.long 0x024B0125
.long 0xBF8C0F72
.long 0x024B1125
.long 0xBF8C0F71
.long 0x024B2125
.long 0xBF8C0F70
.long 0x024B3125
.long 0xBF820030
.long 0xBF8C0F75
.long 0x024AD125
.long 0xBF8C0F74
.long 0x024AE125
.long 0xBF8C0F73
.long 0x024AF125
.long 0xBF8C0F72
.long 0x024B0125
.long 0xBF8C0F71
.long 0x024B1125
.long 0xBF8C0F70
.long 0x024B2125
.long 0xBF820023
.long 0xBF8C0F74
.long 0x024AD125
.long 0xBF8C0F73
.long 0x024AE125
.long 0xBF8C0F72
.long 0x024AF125
.long 0xBF8C0F71
.long 0x024B0125
.long 0xBF8C0F70
.long 0x024B1125
.long 0xBF820018
.long 0xBF8C0F73
.long 0x024AD125
.long 0xBF8C0F72
.long 0x024AE125
.long 0xBF8C0F71
.long 0x024AF125
.long 0xBF8C0F70
.long 0x024B0125
.long 0xBF82000F
.long 0xBF8C0F72
.long 0x024AD125
.long 0xBF8C0F71
.long 0x024AE125
.long 0xBF8C0F70
.long 0x024AF125
.long 0xBF820008
.long 0xBF8C0F71
.long 0x024AD125
.long 0xBF8C0F70
.long 0x024AE125
.long 0xBF820003
.long 0xBF8C0F70
.long 0x024AD125
.long 0xBF820000
.long 0x7E8C02FF, 0x80000000
.long 0xBEE00016
.long 0xBEE10017
	;; [unrolled: 1-line block ×4, first 2 shown]
.long 0xE050D000, 0x80182D26
.long 0xBE850032
.long 0x81858105
	;; [unrolled: 1-line block ×6, first 2 shown]
.long 0xE050D000, 0x80186826
.long 0x81858105
.long 0x80605A60
.long 0x82615B61
.long 0xBF008005
.long 0xBF8501FF
.long 0xE050D000, 0x80187026
.long 0x81858105
.long 0x80605A60
.long 0x82615B61
.long 0xBF008005
.long 0xBF8501F3
.long 0xE050D000, 0x80187826
.long 0x81858105
.long 0x80605A60
.long 0x82615B61
.long 0xBF008005
.long 0xBF8501E5
.long 0xE050D000, 0x80188026
.long 0x81858105
.long 0x80605A60
.long 0x82615B61
.long 0xBF008005
.long 0xBF8501D5
.long 0xE050D000, 0x80188826
.long 0x81858105
.long 0x80605A60
.long 0x82615B61
.long 0xBF008005
.long 0xBF8501C3
.long 0xE050D000, 0x80189026
.long 0x81858105
.long 0x80605A60
.long 0x82615B61
.long 0xBF008005
.long 0xBF8501AF
.long 0xE050D000, 0x80189826
.long 0x81858105
.long 0x80605A60
.long 0x82615B61
.long 0xBF008005
.long 0xBF850199
.long 0xE050D000, 0x8018A026
.long 0x81858105
.long 0x80605A60
.long 0x82615B61
.long 0xBF008005
.long 0xBF850181
.long 0xE050D000, 0x8018A826
.long 0x81858105
.long 0x80605A60
.long 0x82615B61
.long 0xBF008005
.long 0xBF850167
.long 0xE050D000, 0x8018B026
.long 0x81858105
.long 0x80605A60
.long 0x82615B61
.long 0xBF008005
.long 0xBF85014B
.long 0xE050D000, 0x8018B826
.long 0x81858105
.long 0x80605A60
.long 0x82615B61
.long 0xBF008005
.long 0xBF85012D
.long 0xE050D000, 0x8018C026
.long 0x81858105
.long 0x80605A60
.long 0x82615B61
.long 0xBF008005
.long 0xBF85010D
.long 0xE050D000, 0x8018C826
.long 0x81858105
.long 0x80605A60
.long 0x82615B61
.long 0xBF008005
.long 0xBF8500EB
.long 0xE050D000, 0x8018D026
.long 0x81858105
.long 0x80605A60
.long 0x82615B61
.long 0xBF008005
.long 0xBF8500C7
.long 0xE050D000, 0x8018D826
.long 0xBF8C0F7E
.long 0x025AD12D
.long 0x81858105
.long 0xBF05CE05
.long 0xBF8501A0
.long 0x80605A60
.long 0x82615B61
.long 0xD0C6005C, 0x00000A80
.long 0xD1000047, 0x01728D26
.long 0xE050D000, 0x80186847
.long 0xBF8C0F7E
.long 0x025AE12D
.long 0x81858105
.long 0xBF05CE05
.long 0xBF850193
.long 0x80605A60
.long 0x82615B61
.long 0xD0C6005C, 0x00000A80
.long 0xD1000047, 0x01728D26
.long 0xE050D000, 0x80187047
.long 0xBF8C0F7E
.long 0x025AF12D
.long 0x81858105
.long 0xBF05CE05
.long 0xBF850186
.long 0x80605A60
.long 0x82615B61
.long 0xD0C6005C, 0x00000A80
.long 0xD1000047, 0x01728D26
.long 0xE050D000, 0x80187847
.long 0xBF8C0F7E
.long 0x025B012D
.long 0x81858105
.long 0xBF05CE05
.long 0xBF850179
.long 0x80605A60
.long 0x82615B61
.long 0xD0C6005C, 0x00000A80
.long 0xD1000047, 0x01728D26
.long 0xE050D000, 0x80188047
.long 0xBF8C0F7E
.long 0x025B112D
.long 0x81858105
.long 0xBF05CE05
.long 0xBF85016C
.long 0x80605A60
.long 0x82615B61
.long 0xD0C6005C, 0x00000A80
.long 0xD1000047, 0x01728D26
.long 0xE050D000, 0x80188847
.long 0xBF8C0F7E
.long 0x025B212D
.long 0x81858105
.long 0xBF05CE05
.long 0xBF85015F
.long 0x80605A60
.long 0x82615B61
.long 0xD0C6005C, 0x00000A80
.long 0xD1000047, 0x01728D26
.long 0xE050D000, 0x80189047
.long 0xBF8C0F7E
.long 0x025B312D
.long 0x81858105
.long 0xBF05CE05
.long 0xBF850152
.long 0x80605A60
.long 0x82615B61
.long 0xD0C6005C, 0x00000A80
.long 0xD1000047, 0x01728D26
.long 0xE050D000, 0x80189847
.long 0xBF8C0F7E
.long 0x025B412D
.long 0x81858105
.long 0xBF05CE05
.long 0xBF850145
.long 0x80605A60
.long 0x82615B61
.long 0xD0C6005C, 0x00000A80
.long 0xD1000047, 0x01728D26
.long 0xE050D000, 0x8018A047
.long 0xBF8C0F7E
.long 0x025B512D
.long 0x81858105
.long 0xBF05CE05
.long 0xBF850138
.long 0x80605A60
.long 0x82615B61
.long 0xD0C6005C, 0x00000A80
.long 0xD1000047, 0x01728D26
.long 0xE050D000, 0x8018A847
.long 0xBF8C0F7E
.long 0x025B612D
.long 0x81858105
.long 0xBF05CE05
.long 0xBF85012B
.long 0x80605A60
.long 0x82615B61
.long 0xD0C6005C, 0x00000A80
.long 0xD1000047, 0x01728D26
.long 0xE050D000, 0x8018B047
.long 0xBF8C0F7E
.long 0x025B712D
.long 0x81858105
.long 0xBF05CE05
.long 0xBF85011E
.long 0x80605A60
.long 0x82615B61
.long 0xD0C6005C, 0x00000A80
.long 0xD1000047, 0x01728D26
.long 0xE050D000, 0x8018B847
.long 0xBF8C0F7E
.long 0x025B812D
.long 0x81858105
.long 0xBF05CE05
.long 0xBF850111
.long 0x80605A60
.long 0x82615B61
.long 0xD0C6005C, 0x00000A80
.long 0xD1000047, 0x01728D26
.long 0xE050D000, 0x8018C047
.long 0xBF8C0F7E
.long 0x025B912D
.long 0x81858105
.long 0xBF05CE05
.long 0xBF850104
.long 0x80605A60
.long 0x82615B61
.long 0xD0C6005C, 0x00000A80
.long 0xD1000047, 0x01728D26
.long 0xE050D000, 0x8018C847
.long 0xBF8C0F7E
.long 0x025BA12D
.long 0x81858105
.long 0xBF05CE05
.long 0xBF8500F7
.long 0x80605A60
.long 0x82615B61
.long 0xD0C6005C, 0x00000A80
.long 0xD1000047, 0x01728D26
.long 0xE050D000, 0x8018D047
.long 0xBF8C0F7E
.long 0x025BB12D
.long 0x81858105
.long 0xBF05CE05
.long 0xBF8500EA
.long 0x80605A60
.long 0x82615B61
.long 0xD0C6005C, 0x00000A80
.long 0xD1000047, 0x01728D26
.long 0xE050D000, 0x8018D847
.long 0xBF02CE05
.long 0xBF85FF3B
.long 0xBF8C0F7D
.long 0x025AD12D
.long 0xBF8C0F7C
.long 0x025AE12D
.long 0xBF8C0F7B
	;; [unrolled: 1-line block ×221, first 2 shown]
.long 0x7E8C02FF, 0x80000000
.long 0xBEE00016
.long 0xBEE10017
	;; [unrolled: 1-line block ×4, first 2 shown]
.long 0xE050D000, 0x8018352E
.long 0xBE850032
.long 0x81858105
	;; [unrolled: 1-line block ×6, first 2 shown]
.long 0xE050D000, 0x8018682E
.long 0x81858105
.long 0x80605A60
.long 0x82615B61
.long 0xBF008005
.long 0xBF8501FF
.long 0xE050D000, 0x8018702E
.long 0x81858105
.long 0x80605A60
.long 0x82615B61
.long 0xBF008005
.long 0xBF8501F3
	;; [unrolled: 6-line block ×15, first 2 shown]
.long 0x80605A60
.long 0x82615B61
.long 0xD0C6005C, 0x00000A80
.long 0xD1000047, 0x01728D2E
.long 0xE050D000, 0x80186847
.long 0xBF8C0F7E
.long 0x026AE135
.long 0x81858105
.long 0xBF05CE05
.long 0xBF850193
.long 0x80605A60
.long 0x82615B61
.long 0xD0C6005C, 0x00000A80
.long 0xD1000047, 0x01728D2E
.long 0xE050D000, 0x80187047
.long 0xBF8C0F7E
.long 0x026AF135
.long 0x81858105
.long 0xBF05CE05
.long 0xBF850186
	;; [unrolled: 10-line block ×15, first 2 shown]
.long 0x026AE135
.long 0xBF8C0F7B
	;; [unrolled: 1-line block ×221, first 2 shown]
.long 0x7E8C02FF, 0x80000000
.long 0xBEE00016
.long 0xBEE10017
	;; [unrolled: 1-line block ×4, first 2 shown]
.long 0xE050D000, 0x80183D36
.long 0xBE850032
.long 0x81858105
	;; [unrolled: 1-line block ×6, first 2 shown]
.long 0xE050D000, 0x80186836
.long 0x81858105
.long 0x80605A60
.long 0x82615B61
.long 0xBF008005
.long 0xBF8501FF
.long 0xE050D000, 0x80187036
.long 0x81858105
.long 0x80605A60
.long 0x82615B61
.long 0xBF008005
.long 0xBF8501F3
	;; [unrolled: 6-line block ×15, first 2 shown]
.long 0x80605A60
.long 0x82615B61
.long 0xD0C6005C, 0x00000A80
.long 0xD1000047, 0x01728D36
.long 0xE050D000, 0x80186847
.long 0xBF8C0F7E
.long 0x027AE13D
.long 0x81858105
.long 0xBF05CE05
.long 0xBF850193
.long 0x80605A60
.long 0x82615B61
.long 0xD0C6005C, 0x00000A80
.long 0xD1000047, 0x01728D36
.long 0xE050D000, 0x80187047
.long 0xBF8C0F7E
.long 0x027AF13D
.long 0x81858105
.long 0xBF05CE05
.long 0xBF850186
	;; [unrolled: 10-line block ×15, first 2 shown]
.long 0x027AE13D
.long 0xBF8C0F7B
	;; [unrolled: 1-line block ×221, first 2 shown]
.long 0x7E8C02FF, 0x80000000
.long 0xBEE00016
.long 0xBEE10017
.long 0xBEE2000E
.long 0xBEE3000F
.long 0xE050D000, 0x8018453E
.long 0xBE850032
.long 0x81858105
	;; [unrolled: 1-line block ×6, first 2 shown]
.long 0xE050D000, 0x8018683E
.long 0x81858105
.long 0x80605A60
.long 0x82615B61
.long 0xBF008005
.long 0xBF8501FF
.long 0xE050D000, 0x8018703E
.long 0x81858105
.long 0x80605A60
.long 0x82615B61
.long 0xBF008005
.long 0xBF8501F3
	;; [unrolled: 6-line block ×15, first 2 shown]
.long 0x80605A60
.long 0x82615B61
.long 0xD0C6005C, 0x00000A80
.long 0xD1000047, 0x01728D3E
.long 0xE050D000, 0x80186847
.long 0xBF8C0F7E
.long 0x028AE145
.long 0x81858105
.long 0xBF05CE05
.long 0xBF850193
.long 0x80605A60
.long 0x82615B61
.long 0xD0C6005C, 0x00000A80
.long 0xD1000047, 0x01728D3E
.long 0xE050D000, 0x80187047
.long 0xBF8C0F7E
.long 0x028AF145
.long 0x81858105
.long 0xBF05CE05
.long 0xBF850186
	;; [unrolled: 10-line block ×15, first 2 shown]
.long 0x028AE145
.long 0xBF8C0F7B
	;; [unrolled: 1-line block ×230, first 2 shown]
.long 0xD0CC0038, 0x0001004A
.long 0xD100000C, 0x00E218F2
.long 0x0A1A1B0C
.long 0xD3A0000D, 0x14361431
.long 0x021A1B0B
.long 0x7E1A150D
.long 0xE068D000, 0x80140D07
.long 0xBF800000
.long 0xD0CC0038, 0x0001004A
.long 0xD1000014, 0x00E228F2
.long 0x0A2A2B14
.long 0xD3A01015, 0x14562431
.long 0x022A2B13
.long 0x7E2A1515
.long 0xE068D000, 0x8014150F
.long 0xBF800000
	;; [unrolled: 8-line block ×8, first 2 shown]
.long 0xBF800000
.long 0xBED41C00
.long 0x815684FF, 0x00025690
.long 0x80545654
.long 0x82558055
	;; [unrolled: 1-line block ×3, first 2 shown]
.long 0x7E8C02FF, 0x80000000
.long 0xD0C90054, 0x00003900
	;; [unrolled: 1-line block ×3, first 2 shown]
.long 0x86D85854
.long 0xD1FE0006, 0x02060102
.long 0xD1000006, 0x01620D46
	;; [unrolled: 1-line block ×5, first 2 shown]
.long 0x24101082
.long 0xD1000008, 0x01621146
.long 0xBF8CC07F
.long 0xBF8A0000
.long 0xD86C0000, 0x0B000008
.long 0x24120082
.long 0xE0501000, 0x80120C09
.long 0xD1FE0006, 0x020A0103
.long 0xD1000006, 0x01620D46
.long 0xD1FE0007, 0x02060103
.long 0xD1000007, 0x01620F46
.long 0xD1196A04, 0x00010300
.long 0xD0C90054, 0x00003904
.long 0xD0C90058, 0x00003B01
.long 0x86D85854
.long 0xD1FE000E, 0x02060902
.long 0xD100000E, 0x01621D46
.long 0xE0941000, 0x8004120E
.long 0x925402FF, 0x00000080
.long 0xD1350010, 0x0000A904
.long 0x24202082
.long 0xD1000010, 0x01622146
.long 0xD86C0000, 0x13000010
.long 0x24220882
.long 0xE0501000, 0x80121411
.long 0xD1FE000E, 0x020A0903
.long 0xD100000E, 0x01621D46
.long 0xD1FE000F, 0x02060903
.long 0xD100000F, 0x01621F46
.long 0xD1196A04, 0x00010500
.long 0xD0C90054, 0x00003904
.long 0xD0C90058, 0x00003B01
.long 0x86D85854
.long 0xD1FE0016, 0x02060902
.long 0xD1000016, 0x01622D46
.long 0xE0901000, 0x80041A16
.long 0x925402FF, 0x00000080
.long 0xD1350018, 0x0000A904
.long 0x24303082
.long 0xD1000018, 0x01623146
	;; [unrolled: 18-line block ×7, first 2 shown]
.long 0xD86C0000, 0x43000040
.long 0x24820882
.long 0xE0501000, 0x80124441
.long 0xD1FE003E, 0x020A0903
	;; [unrolled: 1-line block ×13, first 2 shown]
.long 0xBF800001
.long 0xE070D000, 0x80030D06
.long 0xE070D000, 0x8003150E
	;; [unrolled: 1-line block ×8, first 2 shown]
.long 0xBF800000
.long 0x92421415
	;; [unrolled: 1-line block ×16, first 2 shown]
.long 0xC2330CCC, 0x00000000
.long 0x965F811C
.long 0x925E811C
	;; [unrolled: 1-line block ×15, first 2 shown]
.long 0x7E8C02FF, 0x80000000
.long 0xBEE00016
.long 0xBEE10017
	;; [unrolled: 1-line block ×7, first 2 shown]
.long 0xE050D000, 0x80180D06
.long 0xBE850032
.long 0x81858105
.long 0x80605A60
.long 0x82615B61
.long 0xBF008005
.long 0xBF850209
.long 0xE050D000, 0x80186806
.long 0x81858105
.long 0x80605A60
.long 0x82615B61
.long 0xBF008005
.long 0xBF8501FF
.long 0xE050D000, 0x80187006
.long 0x81858105
.long 0x80605A60
.long 0x82615B61
.long 0xBF008005
.long 0xBF8501F3
	;; [unrolled: 6-line block ×15, first 2 shown]
.long 0x80605A60
.long 0x82615B61
.long 0xD0C6005C, 0x00000A80
.long 0xD1000047, 0x01728D06
.long 0xE050D000, 0x80186847
.long 0xBF8C0F7E
.long 0x021AE10D
.long 0x81858105
.long 0xBF05CE05
.long 0xBF850193
.long 0x80605A60
.long 0x82615B61
.long 0xD0C6005C, 0x00000A80
.long 0xD1000047, 0x01728D06
.long 0xE050D000, 0x80187047
.long 0xBF8C0F7E
.long 0x021AF10D
.long 0x81858105
.long 0xBF05CE05
.long 0xBF850186
	;; [unrolled: 10-line block ×15, first 2 shown]
.long 0x021AE10D
.long 0xBF8C0F7B
	;; [unrolled: 1-line block ×221, first 2 shown]
.long 0x7E8C02FF, 0x80000000
.long 0xBEE00016
.long 0xBEE10017
	;; [unrolled: 1-line block ×4, first 2 shown]
.long 0xE050D000, 0x8018150E
.long 0xBE850032
.long 0x81858105
	;; [unrolled: 1-line block ×6, first 2 shown]
.long 0xE050D000, 0x8018680E
.long 0x81858105
.long 0x80605A60
.long 0x82615B61
.long 0xBF008005
.long 0xBF8501FF
.long 0xE050D000, 0x8018700E
.long 0x81858105
.long 0x80605A60
.long 0x82615B61
.long 0xBF008005
.long 0xBF8501F3
.long 0xE050D000, 0x8018780E
.long 0x81858105
.long 0x80605A60
.long 0x82615B61
.long 0xBF008005
.long 0xBF8501E5
.long 0xE050D000, 0x8018800E
.long 0x81858105
.long 0x80605A60
.long 0x82615B61
.long 0xBF008005
.long 0xBF8501D5
.long 0xE050D000, 0x8018880E
.long 0x81858105
.long 0x80605A60
.long 0x82615B61
.long 0xBF008005
.long 0xBF8501C3
.long 0xE050D000, 0x8018900E
.long 0x81858105
.long 0x80605A60
.long 0x82615B61
.long 0xBF008005
.long 0xBF8501AF
.long 0xE050D000, 0x8018980E
.long 0x81858105
.long 0x80605A60
.long 0x82615B61
.long 0xBF008005
.long 0xBF850199
.long 0xE050D000, 0x8018A00E
.long 0x81858105
.long 0x80605A60
.long 0x82615B61
.long 0xBF008005
.long 0xBF850181
.long 0xE050D000, 0x8018A80E
.long 0x81858105
.long 0x80605A60
.long 0x82615B61
.long 0xBF008005
.long 0xBF850167
.long 0xE050D000, 0x8018B00E
.long 0x81858105
.long 0x80605A60
.long 0x82615B61
.long 0xBF008005
.long 0xBF85014B
.long 0xE050D000, 0x8018B80E
.long 0x81858105
.long 0x80605A60
.long 0x82615B61
.long 0xBF008005
.long 0xBF85012D
.long 0xE050D000, 0x8018C00E
.long 0x81858105
.long 0x80605A60
.long 0x82615B61
.long 0xBF008005
.long 0xBF85010D
.long 0xE050D000, 0x8018C80E
.long 0x81858105
.long 0x80605A60
.long 0x82615B61
.long 0xBF008005
.long 0xBF8500EB
.long 0xE050D000, 0x8018D00E
.long 0x81858105
.long 0x80605A60
.long 0x82615B61
.long 0xBF008005
.long 0xBF8500C7
.long 0xE050D000, 0x8018D80E
.long 0xBF8C0F7E
.long 0x022AD115
.long 0x81858105
.long 0xBF05CE05
.long 0xBF8501A0
.long 0x80605A60
.long 0x82615B61
.long 0xD0C6005C, 0x00000A80
.long 0xD1000047, 0x01728D0E
.long 0xE050D000, 0x80186847
.long 0xBF8C0F7E
.long 0x022AE115
.long 0x81858105
.long 0xBF05CE05
.long 0xBF850193
.long 0x80605A60
.long 0x82615B61
.long 0xD0C6005C, 0x00000A80
.long 0xD1000047, 0x01728D0E
.long 0xE050D000, 0x80187047
.long 0xBF8C0F7E
.long 0x022AF115
.long 0x81858105
.long 0xBF05CE05
.long 0xBF850186
	;; [unrolled: 10-line block ×15, first 2 shown]
.long 0x022AE115
.long 0xBF8C0F7B
	;; [unrolled: 1-line block ×221, first 2 shown]
.long 0x7E8C02FF, 0x80000000
.long 0xBEE00016
.long 0xBEE10017
	;; [unrolled: 1-line block ×4, first 2 shown]
.long 0xE050D000, 0x80181D16
.long 0xBE850032
.long 0x81858105
	;; [unrolled: 1-line block ×6, first 2 shown]
.long 0xE050D000, 0x80186816
.long 0x81858105
.long 0x80605A60
.long 0x82615B61
.long 0xBF008005
.long 0xBF8501FF
.long 0xE050D000, 0x80187016
.long 0x81858105
.long 0x80605A60
.long 0x82615B61
.long 0xBF008005
.long 0xBF8501F3
	;; [unrolled: 6-line block ×15, first 2 shown]
.long 0x80605A60
.long 0x82615B61
.long 0xD0C6005C, 0x00000A80
.long 0xD1000047, 0x01728D16
.long 0xE050D000, 0x80186847
.long 0xBF8C0F7E
.long 0x023AE11D
.long 0x81858105
.long 0xBF05CE05
.long 0xBF850193
.long 0x80605A60
.long 0x82615B61
.long 0xD0C6005C, 0x00000A80
.long 0xD1000047, 0x01728D16
.long 0xE050D000, 0x80187047
.long 0xBF8C0F7E
.long 0x023AF11D
.long 0x81858105
.long 0xBF05CE05
.long 0xBF850186
	;; [unrolled: 10-line block ×15, first 2 shown]
.long 0x023AE11D
.long 0xBF8C0F7B
	;; [unrolled: 1-line block ×221, first 2 shown]
.long 0x7E8C02FF, 0x80000000
.long 0xBEE00016
.long 0xBEE10017
	;; [unrolled: 1-line block ×4, first 2 shown]
.long 0xE050D000, 0x8018251E
.long 0xBE850032
.long 0x81858105
	;; [unrolled: 1-line block ×6, first 2 shown]
.long 0xE050D000, 0x8018681E
.long 0x81858105
.long 0x80605A60
.long 0x82615B61
.long 0xBF008005
.long 0xBF8501FF
.long 0xE050D000, 0x8018701E
.long 0x81858105
.long 0x80605A60
.long 0x82615B61
.long 0xBF008005
.long 0xBF8501F3
	;; [unrolled: 6-line block ×15, first 2 shown]
.long 0x80605A60
.long 0x82615B61
.long 0xD0C6005C, 0x00000A80
.long 0xD1000047, 0x01728D1E
.long 0xE050D000, 0x80186847
.long 0xBF8C0F7E
.long 0x024AE125
.long 0x81858105
.long 0xBF05CE05
.long 0xBF850193
.long 0x80605A60
.long 0x82615B61
.long 0xD0C6005C, 0x00000A80
.long 0xD1000047, 0x01728D1E
.long 0xE050D000, 0x80187047
.long 0xBF8C0F7E
.long 0x024AF125
.long 0x81858105
.long 0xBF05CE05
.long 0xBF850186
	;; [unrolled: 10-line block ×15, first 2 shown]
.long 0x024AE125
.long 0xBF8C0F7B
	;; [unrolled: 1-line block ×221, first 2 shown]
.long 0x7E8C02FF, 0x80000000
.long 0xBEE00016
.long 0xBEE10017
	;; [unrolled: 1-line block ×4, first 2 shown]
.long 0xE050D000, 0x80182D26
.long 0xBE850032
.long 0x81858105
	;; [unrolled: 1-line block ×6, first 2 shown]
.long 0xE050D000, 0x80186826
.long 0x81858105
.long 0x80605A60
.long 0x82615B61
.long 0xBF008005
.long 0xBF8501FF
.long 0xE050D000, 0x80187026
.long 0x81858105
.long 0x80605A60
.long 0x82615B61
.long 0xBF008005
.long 0xBF8501F3
	;; [unrolled: 6-line block ×15, first 2 shown]
.long 0x80605A60
.long 0x82615B61
.long 0xD0C6005C, 0x00000A80
.long 0xD1000047, 0x01728D26
.long 0xE050D000, 0x80186847
.long 0xBF8C0F7E
.long 0x025AE12D
.long 0x81858105
.long 0xBF05CE05
.long 0xBF850193
.long 0x80605A60
.long 0x82615B61
.long 0xD0C6005C, 0x00000A80
.long 0xD1000047, 0x01728D26
.long 0xE050D000, 0x80187047
.long 0xBF8C0F7E
.long 0x025AF12D
.long 0x81858105
.long 0xBF05CE05
.long 0xBF850186
	;; [unrolled: 10-line block ×15, first 2 shown]
.long 0x025AE12D
.long 0xBF8C0F7B
	;; [unrolled: 1-line block ×221, first 2 shown]
.long 0x7E8C02FF, 0x80000000
.long 0xBEE00016
.long 0xBEE10017
	;; [unrolled: 1-line block ×4, first 2 shown]
.long 0xE050D000, 0x8018352E
.long 0xBE850032
.long 0x81858105
	;; [unrolled: 1-line block ×6, first 2 shown]
.long 0xE050D000, 0x8018682E
.long 0x81858105
.long 0x80605A60
.long 0x82615B61
.long 0xBF008005
.long 0xBF8501FF
.long 0xE050D000, 0x8018702E
.long 0x81858105
.long 0x80605A60
.long 0x82615B61
.long 0xBF008005
.long 0xBF8501F3
	;; [unrolled: 6-line block ×15, first 2 shown]
.long 0x80605A60
.long 0x82615B61
.long 0xD0C6005C, 0x00000A80
.long 0xD1000047, 0x01728D2E
.long 0xE050D000, 0x80186847
.long 0xBF8C0F7E
.long 0x026AE135
.long 0x81858105
.long 0xBF05CE05
.long 0xBF850193
.long 0x80605A60
.long 0x82615B61
.long 0xD0C6005C, 0x00000A80
.long 0xD1000047, 0x01728D2E
.long 0xE050D000, 0x80187047
.long 0xBF8C0F7E
.long 0x026AF135
.long 0x81858105
.long 0xBF05CE05
.long 0xBF850186
	;; [unrolled: 10-line block ×15, first 2 shown]
.long 0x026AE135
.long 0xBF8C0F7B
	;; [unrolled: 1-line block ×221, first 2 shown]
.long 0x7E8C02FF, 0x80000000
.long 0xBEE00016
.long 0xBEE10017
	;; [unrolled: 1-line block ×4, first 2 shown]
.long 0xE050D000, 0x80183D36
.long 0xBE850032
.long 0x81858105
.long 0x80605A60
.long 0x82615B61
.long 0xBF008005
.long 0xBF850209
.long 0xE050D000, 0x80186836
.long 0x81858105
.long 0x80605A60
.long 0x82615B61
.long 0xBF008005
.long 0xBF8501FF
.long 0xE050D000, 0x80187036
.long 0x81858105
.long 0x80605A60
.long 0x82615B61
.long 0xBF008005
.long 0xBF8501F3
	;; [unrolled: 6-line block ×15, first 2 shown]
.long 0x80605A60
.long 0x82615B61
.long 0xD0C6005C, 0x00000A80
.long 0xD1000047, 0x01728D36
.long 0xE050D000, 0x80186847
.long 0xBF8C0F7E
.long 0x027AE13D
.long 0x81858105
.long 0xBF05CE05
.long 0xBF850193
.long 0x80605A60
.long 0x82615B61
.long 0xD0C6005C, 0x00000A80
.long 0xD1000047, 0x01728D36
.long 0xE050D000, 0x80187047
.long 0xBF8C0F7E
.long 0x027AF13D
.long 0x81858105
.long 0xBF05CE05
.long 0xBF850186
	;; [unrolled: 10-line block ×15, first 2 shown]
.long 0x027AE13D
.long 0xBF8C0F7B
	;; [unrolled: 1-line block ×221, first 2 shown]
.long 0x7E8C02FF, 0x80000000
.long 0xBEE00016
.long 0xBEE10017
	;; [unrolled: 1-line block ×4, first 2 shown]
.long 0xE050D000, 0x8018453E
.long 0xBE850032
.long 0x81858105
	;; [unrolled: 1-line block ×6, first 2 shown]
.long 0xE050D000, 0x8018683E
.long 0x81858105
.long 0x80605A60
.long 0x82615B61
.long 0xBF008005
.long 0xBF8501FF
.long 0xE050D000, 0x8018703E
.long 0x81858105
.long 0x80605A60
.long 0x82615B61
.long 0xBF008005
.long 0xBF8501F3
.long 0xE050D000, 0x8018783E
.long 0x81858105
.long 0x80605A60
.long 0x82615B61
.long 0xBF008005
.long 0xBF8501E5
.long 0xE050D000, 0x8018803E
.long 0x81858105
.long 0x80605A60
.long 0x82615B61
.long 0xBF008005
.long 0xBF8501D5
.long 0xE050D000, 0x8018883E
.long 0x81858105
.long 0x80605A60
.long 0x82615B61
.long 0xBF008005
.long 0xBF8501C3
.long 0xE050D000, 0x8018903E
.long 0x81858105
.long 0x80605A60
.long 0x82615B61
.long 0xBF008005
.long 0xBF8501AF
.long 0xE050D000, 0x8018983E
.long 0x81858105
.long 0x80605A60
.long 0x82615B61
.long 0xBF008005
.long 0xBF850199
.long 0xE050D000, 0x8018A03E
.long 0x81858105
.long 0x80605A60
.long 0x82615B61
.long 0xBF008005
.long 0xBF850181
.long 0xE050D000, 0x8018A83E
.long 0x81858105
.long 0x80605A60
.long 0x82615B61
.long 0xBF008005
.long 0xBF850167
.long 0xE050D000, 0x8018B03E
.long 0x81858105
.long 0x80605A60
.long 0x82615B61
.long 0xBF008005
.long 0xBF85014B
.long 0xE050D000, 0x8018B83E
.long 0x81858105
.long 0x80605A60
.long 0x82615B61
.long 0xBF008005
.long 0xBF85012D
.long 0xE050D000, 0x8018C03E
.long 0x81858105
.long 0x80605A60
.long 0x82615B61
.long 0xBF008005
.long 0xBF85010D
.long 0xE050D000, 0x8018C83E
.long 0x81858105
.long 0x80605A60
.long 0x82615B61
.long 0xBF008005
.long 0xBF8500EB
.long 0xE050D000, 0x8018D03E
.long 0x81858105
.long 0x80605A60
.long 0x82615B61
.long 0xBF008005
.long 0xBF8500C7
.long 0xE050D000, 0x8018D83E
.long 0xBF8C0F7E
.long 0x028AD145
.long 0x81858105
.long 0xBF05CE05
.long 0xBF8501A0
.long 0x80605A60
.long 0x82615B61
.long 0xD0C6005C, 0x00000A80
.long 0xD1000047, 0x01728D3E
.long 0xE050D000, 0x80186847
.long 0xBF8C0F7E
.long 0x028AE145
.long 0x81858105
.long 0xBF05CE05
.long 0xBF850193
.long 0x80605A60
.long 0x82615B61
.long 0xD0C6005C, 0x00000A80
.long 0xD1000047, 0x01728D3E
.long 0xE050D000, 0x80187047
.long 0xBF8C0F7E
.long 0x028AF145
.long 0x81858105
.long 0xBF05CE05
.long 0xBF850186
	;; [unrolled: 10-line block ×15, first 2 shown]
.long 0x028AE145
.long 0xBF8C0F7B
	;; [unrolled: 1-line block ×230, first 2 shown]
.long 0xD0CC0038, 0x0001004A
.long 0xD100000C, 0x00E218F2
.long 0x0A1A1B0C
.long 0xD3A0000D, 0x14361431
.long 0x021A1B0B
.long 0x261A1AFF, 0x7FFFFFFF
.long 0x7E1A150D
.long 0xE068D000, 0x80140D07
.long 0xBF800000
.long 0xD0CC0038, 0x0001004A
.long 0xD1000014, 0x00E228F2
.long 0x0A2A2B14
.long 0xD3A01015, 0x14562431
.long 0x022A2B13
.long 0x262A2AFF, 0x7FFFFFFF
.long 0x7E2A1515
.long 0xE068D000, 0x8014150F
.long 0xBF800000
	;; [unrolled: 9-line block ×8, first 2 shown]
.long 0xBF800000
.long 0xBED41C00
.long 0x815684FF, 0x00020C74
.long 0x80545654
.long 0x82558055
	;; [unrolled: 1-line block ×3, first 2 shown]
.long 0x7E8C02FF, 0x80000000
.long 0xD0C90054, 0x00003900
	;; [unrolled: 1-line block ×3, first 2 shown]
.long 0x86D85854
.long 0xD1FE0006, 0x02060102
.long 0xD1000006, 0x01620D46
	;; [unrolled: 1-line block ×5, first 2 shown]
.long 0x24101082
.long 0xD1000008, 0x01621146
.long 0xBF8CC07F
.long 0xBF8A0000
.long 0xD86C0000, 0x0B000008
.long 0x24120082
.long 0xE0501000, 0x80120C09
.long 0xD1FE0006, 0x020A0103
.long 0xD1000006, 0x01620D46
.long 0xD1FE0007, 0x02060103
.long 0xD1000007, 0x01620F46
.long 0xD1196A04, 0x00010300
.long 0xD0C90054, 0x00003904
.long 0xD0C90058, 0x00003B01
.long 0x86D85854
.long 0xD1FE000E, 0x02060902
.long 0xD100000E, 0x01621D46
.long 0xE0941000, 0x8004120E
.long 0x925402FF, 0x00000080
.long 0xD1350010, 0x0000A904
.long 0x24202082
.long 0xD1000010, 0x01622146
.long 0xD86C0000, 0x13000010
.long 0x24220882
.long 0xE0501000, 0x80121411
.long 0xD1FE000E, 0x020A0903
.long 0xD100000E, 0x01621D46
.long 0xD1FE000F, 0x02060903
.long 0xD100000F, 0x01621F46
.long 0xD1196A04, 0x00010500
.long 0xD0C90054, 0x00003904
.long 0xD0C90058, 0x00003B01
.long 0x86D85854
.long 0xD1FE0016, 0x02060902
.long 0xD1000016, 0x01622D46
.long 0xE0901000, 0x80041A16
.long 0x925402FF, 0x00000080
.long 0xD1350018, 0x0000A904
.long 0x24303082
.long 0xD1000018, 0x01623146
	;; [unrolled: 18-line block ×7, first 2 shown]
.long 0xD86C0000, 0x43000040
.long 0x24820882
.long 0xE0501000, 0x80124441
.long 0xD1FE003E, 0x020A0903
	;; [unrolled: 1-line block ×13, first 2 shown]
.long 0xBF800001
.long 0xE070D000, 0x80030D06
.long 0xE070D000, 0x8003150E
	;; [unrolled: 1-line block ×8, first 2 shown]
.long 0xBF800000
.long 0x92421415
	;; [unrolled: 1-line block ×16, first 2 shown]
.long 0xC2330CCC, 0x00000000
.long 0x965F811C
.long 0x925E811C
	;; [unrolled: 1-line block ×15, first 2 shown]
.long 0x7E8C02FF, 0x80000000
.long 0xBEE00016
.long 0xBEE10017
	;; [unrolled: 1-line block ×7, first 2 shown]
.long 0xE050D000, 0x80180D06
.long 0xBE850032
.long 0x81858105
	;; [unrolled: 1-line block ×6, first 2 shown]
.long 0xE050D000, 0x80186806
.long 0x81858105
.long 0x80605A60
.long 0x82615B61
.long 0xBF008005
.long 0xBF8501FF
.long 0xE050D000, 0x80187006
.long 0x81858105
.long 0x80605A60
.long 0x82615B61
.long 0xBF008005
.long 0xBF8501F3
	;; [unrolled: 6-line block ×15, first 2 shown]
.long 0x80605A60
.long 0x82615B61
.long 0xD0C6005C, 0x00000A80
.long 0xD1000047, 0x01728D06
.long 0xE050D000, 0x80186847
.long 0xBF8C0F7E
.long 0x021AE10D
.long 0x81858105
.long 0xBF05CE05
.long 0xBF850193
.long 0x80605A60
.long 0x82615B61
.long 0xD0C6005C, 0x00000A80
.long 0xD1000047, 0x01728D06
.long 0xE050D000, 0x80187047
.long 0xBF8C0F7E
.long 0x021AF10D
.long 0x81858105
.long 0xBF05CE05
.long 0xBF850186
	;; [unrolled: 10-line block ×15, first 2 shown]
.long 0x021AE10D
.long 0xBF8C0F7B
	;; [unrolled: 1-line block ×221, first 2 shown]
.long 0x7E8C02FF, 0x80000000
.long 0xBEE00016
.long 0xBEE10017
	;; [unrolled: 1-line block ×4, first 2 shown]
.long 0xE050D000, 0x8018150E
.long 0xBE850032
.long 0x81858105
.long 0x80605A60
.long 0x82615B61
.long 0xBF008005
.long 0xBF850209
.long 0xE050D000, 0x8018680E
.long 0x81858105
.long 0x80605A60
.long 0x82615B61
.long 0xBF008005
.long 0xBF8501FF
.long 0xE050D000, 0x8018700E
.long 0x81858105
.long 0x80605A60
.long 0x82615B61
.long 0xBF008005
.long 0xBF8501F3
	;; [unrolled: 6-line block ×15, first 2 shown]
.long 0x80605A60
.long 0x82615B61
.long 0xD0C6005C, 0x00000A80
.long 0xD1000047, 0x01728D0E
.long 0xE050D000, 0x80186847
.long 0xBF8C0F7E
.long 0x022AE115
.long 0x81858105
.long 0xBF05CE05
.long 0xBF850193
.long 0x80605A60
.long 0x82615B61
.long 0xD0C6005C, 0x00000A80
.long 0xD1000047, 0x01728D0E
.long 0xE050D000, 0x80187047
.long 0xBF8C0F7E
.long 0x022AF115
.long 0x81858105
.long 0xBF05CE05
.long 0xBF850186
	;; [unrolled: 10-line block ×15, first 2 shown]
.long 0x022AE115
.long 0xBF8C0F7B
	;; [unrolled: 1-line block ×221, first 2 shown]
.long 0x7E8C02FF, 0x80000000
.long 0xBEE00016
.long 0xBEE10017
	;; [unrolled: 1-line block ×4, first 2 shown]
.long 0xE050D000, 0x80181D16
.long 0xBE850032
.long 0x81858105
	;; [unrolled: 1-line block ×6, first 2 shown]
.long 0xE050D000, 0x80186816
.long 0x81858105
.long 0x80605A60
.long 0x82615B61
.long 0xBF008005
.long 0xBF8501FF
.long 0xE050D000, 0x80187016
.long 0x81858105
.long 0x80605A60
.long 0x82615B61
.long 0xBF008005
.long 0xBF8501F3
	;; [unrolled: 6-line block ×15, first 2 shown]
.long 0x80605A60
.long 0x82615B61
.long 0xD0C6005C, 0x00000A80
.long 0xD1000047, 0x01728D16
.long 0xE050D000, 0x80186847
.long 0xBF8C0F7E
.long 0x023AE11D
.long 0x81858105
.long 0xBF05CE05
.long 0xBF850193
.long 0x80605A60
.long 0x82615B61
.long 0xD0C6005C, 0x00000A80
.long 0xD1000047, 0x01728D16
.long 0xE050D000, 0x80187047
.long 0xBF8C0F7E
.long 0x023AF11D
.long 0x81858105
.long 0xBF05CE05
.long 0xBF850186
	;; [unrolled: 10-line block ×15, first 2 shown]
.long 0x023AE11D
.long 0xBF8C0F7B
	;; [unrolled: 1-line block ×221, first 2 shown]
.long 0x7E8C02FF, 0x80000000
.long 0xBEE00016
.long 0xBEE10017
	;; [unrolled: 1-line block ×4, first 2 shown]
.long 0xE050D000, 0x8018251E
.long 0xBE850032
.long 0x81858105
	;; [unrolled: 1-line block ×6, first 2 shown]
.long 0xE050D000, 0x8018681E
.long 0x81858105
.long 0x80605A60
.long 0x82615B61
.long 0xBF008005
.long 0xBF8501FF
.long 0xE050D000, 0x8018701E
.long 0x81858105
.long 0x80605A60
.long 0x82615B61
.long 0xBF008005
.long 0xBF8501F3
	;; [unrolled: 6-line block ×15, first 2 shown]
.long 0x80605A60
.long 0x82615B61
.long 0xD0C6005C, 0x00000A80
.long 0xD1000047, 0x01728D1E
.long 0xE050D000, 0x80186847
.long 0xBF8C0F7E
.long 0x024AE125
.long 0x81858105
.long 0xBF05CE05
.long 0xBF850193
.long 0x80605A60
.long 0x82615B61
.long 0xD0C6005C, 0x00000A80
.long 0xD1000047, 0x01728D1E
.long 0xE050D000, 0x80187047
.long 0xBF8C0F7E
.long 0x024AF125
.long 0x81858105
.long 0xBF05CE05
.long 0xBF850186
	;; [unrolled: 10-line block ×15, first 2 shown]
.long 0x024AE125
.long 0xBF8C0F7B
	;; [unrolled: 1-line block ×221, first 2 shown]
.long 0x7E8C02FF, 0x80000000
.long 0xBEE00016
.long 0xBEE10017
	;; [unrolled: 1-line block ×4, first 2 shown]
.long 0xE050D000, 0x80182D26
.long 0xBE850032
.long 0x81858105
.long 0x80605A60
.long 0x82615B61
.long 0xBF008005
.long 0xBF850209
.long 0xE050D000, 0x80186826
.long 0x81858105
.long 0x80605A60
.long 0x82615B61
.long 0xBF008005
.long 0xBF8501FF
.long 0xE050D000, 0x80187026
.long 0x81858105
.long 0x80605A60
.long 0x82615B61
.long 0xBF008005
.long 0xBF8501F3
	;; [unrolled: 6-line block ×15, first 2 shown]
.long 0x80605A60
.long 0x82615B61
.long 0xD0C6005C, 0x00000A80
.long 0xD1000047, 0x01728D26
.long 0xE050D000, 0x80186847
.long 0xBF8C0F7E
.long 0x025AE12D
.long 0x81858105
.long 0xBF05CE05
.long 0xBF850193
.long 0x80605A60
.long 0x82615B61
.long 0xD0C6005C, 0x00000A80
.long 0xD1000047, 0x01728D26
.long 0xE050D000, 0x80187047
.long 0xBF8C0F7E
.long 0x025AF12D
.long 0x81858105
.long 0xBF05CE05
.long 0xBF850186
	;; [unrolled: 10-line block ×15, first 2 shown]
.long 0x025AE12D
.long 0xBF8C0F7B
	;; [unrolled: 1-line block ×221, first 2 shown]
.long 0x7E8C02FF, 0x80000000
.long 0xBEE00016
.long 0xBEE10017
	;; [unrolled: 1-line block ×4, first 2 shown]
.long 0xE050D000, 0x8018352E
.long 0xBE850032
.long 0x81858105
	;; [unrolled: 1-line block ×6, first 2 shown]
.long 0xE050D000, 0x8018682E
.long 0x81858105
.long 0x80605A60
.long 0x82615B61
.long 0xBF008005
.long 0xBF8501FF
.long 0xE050D000, 0x8018702E
.long 0x81858105
.long 0x80605A60
.long 0x82615B61
.long 0xBF008005
.long 0xBF8501F3
	;; [unrolled: 6-line block ×15, first 2 shown]
.long 0x80605A60
.long 0x82615B61
.long 0xD0C6005C, 0x00000A80
.long 0xD1000047, 0x01728D2E
.long 0xE050D000, 0x80186847
.long 0xBF8C0F7E
.long 0x026AE135
.long 0x81858105
.long 0xBF05CE05
.long 0xBF850193
.long 0x80605A60
.long 0x82615B61
.long 0xD0C6005C, 0x00000A80
.long 0xD1000047, 0x01728D2E
.long 0xE050D000, 0x80187047
.long 0xBF8C0F7E
.long 0x026AF135
.long 0x81858105
.long 0xBF05CE05
.long 0xBF850186
	;; [unrolled: 10-line block ×15, first 2 shown]
.long 0x026AE135
.long 0xBF8C0F7B
	;; [unrolled: 1-line block ×221, first 2 shown]
.long 0x7E8C02FF, 0x80000000
.long 0xBEE00016
.long 0xBEE10017
	;; [unrolled: 1-line block ×4, first 2 shown]
.long 0xE050D000, 0x80183D36
.long 0xBE850032
.long 0x81858105
	;; [unrolled: 1-line block ×6, first 2 shown]
.long 0xE050D000, 0x80186836
.long 0x81858105
.long 0x80605A60
.long 0x82615B61
.long 0xBF008005
.long 0xBF8501FF
.long 0xE050D000, 0x80187036
.long 0x81858105
.long 0x80605A60
.long 0x82615B61
.long 0xBF008005
.long 0xBF8501F3
.long 0xE050D000, 0x80187836
.long 0x81858105
.long 0x80605A60
.long 0x82615B61
.long 0xBF008005
.long 0xBF8501E5
.long 0xE050D000, 0x80188036
.long 0x81858105
.long 0x80605A60
.long 0x82615B61
.long 0xBF008005
.long 0xBF8501D5
.long 0xE050D000, 0x80188836
.long 0x81858105
.long 0x80605A60
.long 0x82615B61
.long 0xBF008005
.long 0xBF8501C3
.long 0xE050D000, 0x80189036
.long 0x81858105
.long 0x80605A60
.long 0x82615B61
.long 0xBF008005
.long 0xBF8501AF
.long 0xE050D000, 0x80189836
.long 0x81858105
.long 0x80605A60
.long 0x82615B61
.long 0xBF008005
.long 0xBF850199
.long 0xE050D000, 0x8018A036
.long 0x81858105
.long 0x80605A60
.long 0x82615B61
.long 0xBF008005
.long 0xBF850181
.long 0xE050D000, 0x8018A836
.long 0x81858105
.long 0x80605A60
.long 0x82615B61
.long 0xBF008005
.long 0xBF850167
.long 0xE050D000, 0x8018B036
.long 0x81858105
.long 0x80605A60
.long 0x82615B61
.long 0xBF008005
.long 0xBF85014B
.long 0xE050D000, 0x8018B836
.long 0x81858105
.long 0x80605A60
.long 0x82615B61
.long 0xBF008005
.long 0xBF85012D
.long 0xE050D000, 0x8018C036
.long 0x81858105
.long 0x80605A60
.long 0x82615B61
.long 0xBF008005
.long 0xBF85010D
.long 0xE050D000, 0x8018C836
.long 0x81858105
.long 0x80605A60
.long 0x82615B61
.long 0xBF008005
.long 0xBF8500EB
.long 0xE050D000, 0x8018D036
.long 0x81858105
.long 0x80605A60
.long 0x82615B61
.long 0xBF008005
.long 0xBF8500C7
.long 0xE050D000, 0x8018D836
.long 0xBF8C0F7E
.long 0x027AD13D
.long 0x81858105
.long 0xBF05CE05
.long 0xBF8501A0
.long 0x80605A60
.long 0x82615B61
.long 0xD0C6005C, 0x00000A80
.long 0xD1000047, 0x01728D36
.long 0xE050D000, 0x80186847
.long 0xBF8C0F7E
.long 0x027AE13D
.long 0x81858105
.long 0xBF05CE05
.long 0xBF850193
.long 0x80605A60
.long 0x82615B61
.long 0xD0C6005C, 0x00000A80
.long 0xD1000047, 0x01728D36
.long 0xE050D000, 0x80187047
.long 0xBF8C0F7E
.long 0x027AF13D
.long 0x81858105
.long 0xBF05CE05
.long 0xBF850186
	;; [unrolled: 10-line block ×15, first 2 shown]
.long 0x027AE13D
.long 0xBF8C0F7B
	;; [unrolled: 1-line block ×221, first 2 shown]
.long 0x7E8C02FF, 0x80000000
.long 0xBEE00016
.long 0xBEE10017
	;; [unrolled: 1-line block ×4, first 2 shown]
.long 0xE050D000, 0x8018453E
.long 0xBE850032
.long 0x81858105
	;; [unrolled: 1-line block ×6, first 2 shown]
.long 0xE050D000, 0x8018683E
.long 0x81858105
.long 0x80605A60
.long 0x82615B61
.long 0xBF008005
.long 0xBF8501FF
.long 0xE050D000, 0x8018703E
.long 0x81858105
.long 0x80605A60
.long 0x82615B61
.long 0xBF008005
.long 0xBF8501F3
	;; [unrolled: 6-line block ×15, first 2 shown]
.long 0x80605A60
.long 0x82615B61
.long 0xD0C6005C, 0x00000A80
.long 0xD1000047, 0x01728D3E
.long 0xE050D000, 0x80186847
.long 0xBF8C0F7E
.long 0x028AE145
.long 0x81858105
.long 0xBF05CE05
.long 0xBF850193
.long 0x80605A60
.long 0x82615B61
.long 0xD0C6005C, 0x00000A80
.long 0xD1000047, 0x01728D3E
.long 0xE050D000, 0x80187047
.long 0xBF8C0F7E
.long 0x028AF145
.long 0x81858105
.long 0xBF05CE05
.long 0xBF850186
	;; [unrolled: 10-line block ×15, first 2 shown]
.long 0x028AE145
.long 0xBF8C0F7B
	;; [unrolled: 1-line block ×230, first 2 shown]
.long 0xD0CC0038, 0x0001004A
.long 0xD100000C, 0x00E218F2
.long 0x0A1A1B0C
.long 0xD3A0000D, 0x14361431
.long 0x021A1B0B
.long 0xD044006A, 0x00007D0D
.long 0x141A1A3F
.long 0x001A1A80
.long 0x7E1A150D
.long 0xE068D000, 0x80140D07
.long 0xBF800000
.long 0xD0CC0038, 0x0001004A
.long 0xD1000014, 0x00E228F2
.long 0x0A2A2B14
.long 0xD3A01015, 0x14562431
.long 0x022A2B13
.long 0xD044006A, 0x00007D15
.long 0x142A2A3F
.long 0x002A2A80
.long 0x7E2A1515
.long 0xE068D000, 0x8014150F
.long 0xBF800000
	;; [unrolled: 11-line block ×8, first 2 shown]
.long 0xBF800000
.long 0xBED41C00
.long 0x815684FF, 0x0001C218
.long 0x80545654
.long 0x82558055
	;; [unrolled: 1-line block ×3, first 2 shown]
.long 0x7E8C02FF, 0x80000000
.long 0xD0C90054, 0x00003900
	;; [unrolled: 1-line block ×3, first 2 shown]
.long 0x86D85854
.long 0xD1FE0006, 0x02060102
.long 0xD1000006, 0x01620D46
	;; [unrolled: 1-line block ×5, first 2 shown]
.long 0x24101082
.long 0xD1000008, 0x01621146
.long 0xBF8CC07F
.long 0xBF8A0000
.long 0xD86C0000, 0x0B000008
.long 0x24120082
.long 0xE0501000, 0x80120C09
.long 0xD1FE0006, 0x020A0103
.long 0xD1000006, 0x01620D46
.long 0xD1FE0007, 0x02060103
.long 0xD1000007, 0x01620F46
.long 0xD1196A04, 0x00010300
.long 0xD0C90054, 0x00003904
.long 0xD0C90058, 0x00003B01
.long 0x86D85854
.long 0xD1FE000E, 0x02060902
.long 0xD100000E, 0x01621D46
.long 0xE0941000, 0x8004120E
.long 0x925402FF, 0x00000080
.long 0xD1350010, 0x0000A904
.long 0x24202082
.long 0xD1000010, 0x01622146
.long 0xD86C0000, 0x13000010
.long 0x24220882
.long 0xE0501000, 0x80121411
.long 0xD1FE000E, 0x020A0903
.long 0xD100000E, 0x01621D46
.long 0xD1FE000F, 0x02060903
.long 0xD100000F, 0x01621F46
.long 0xD1196A04, 0x00010500
.long 0xD0C90054, 0x00003904
.long 0xD0C90058, 0x00003B01
.long 0x86D85854
.long 0xD1FE0016, 0x02060902
.long 0xD1000016, 0x01622D46
.long 0xE0901000, 0x80041A16
.long 0x925402FF, 0x00000080
.long 0xD1350018, 0x0000A904
.long 0x24303082
.long 0xD1000018, 0x01623146
	;; [unrolled: 18-line block ×7, first 2 shown]
.long 0xD86C0000, 0x43000040
.long 0x24820882
.long 0xE0501000, 0x80124441
.long 0xD1FE003E, 0x020A0903
	;; [unrolled: 1-line block ×13, first 2 shown]
.long 0xBF800001
.long 0xE070D000, 0x80030D06
.long 0xE070D000, 0x8003150E
	;; [unrolled: 1-line block ×8, first 2 shown]
.long 0xBF800000
.long 0x92421415
	;; [unrolled: 1-line block ×16, first 2 shown]
.long 0xC2330CCC, 0x00000000
.long 0x965F811C
.long 0x925E811C
	;; [unrolled: 1-line block ×15, first 2 shown]
.long 0x7E8C02FF, 0x80000000
.long 0xBEE00016
.long 0xBEE10017
	;; [unrolled: 1-line block ×7, first 2 shown]
.long 0xE050D000, 0x80180D06
.long 0xBE850032
.long 0x81858105
	;; [unrolled: 1-line block ×6, first 2 shown]
.long 0xE050D000, 0x80186806
.long 0x81858105
.long 0x80605A60
.long 0x82615B61
.long 0xBF008005
.long 0xBF8501FF
.long 0xE050D000, 0x80187006
.long 0x81858105
.long 0x80605A60
.long 0x82615B61
.long 0xBF008005
.long 0xBF8501F3
	;; [unrolled: 6-line block ×15, first 2 shown]
.long 0x80605A60
.long 0x82615B61
.long 0xD0C6005C, 0x00000A80
.long 0xD1000047, 0x01728D06
.long 0xE050D000, 0x80186847
.long 0xBF8C0F7E
.long 0x021AE10D
.long 0x81858105
.long 0xBF05CE05
.long 0xBF850193
.long 0x80605A60
.long 0x82615B61
.long 0xD0C6005C, 0x00000A80
.long 0xD1000047, 0x01728D06
.long 0xE050D000, 0x80187047
.long 0xBF8C0F7E
.long 0x021AF10D
.long 0x81858105
.long 0xBF05CE05
.long 0xBF850186
	;; [unrolled: 10-line block ×15, first 2 shown]
.long 0x021AE10D
.long 0xBF8C0F7B
	;; [unrolled: 1-line block ×221, first 2 shown]
.long 0x7E8C02FF, 0x80000000
.long 0xBEE00016
.long 0xBEE10017
	;; [unrolled: 1-line block ×4, first 2 shown]
.long 0xE050D000, 0x8018150E
.long 0xBE850032
.long 0x81858105
	;; [unrolled: 1-line block ×6, first 2 shown]
.long 0xE050D000, 0x8018680E
.long 0x81858105
.long 0x80605A60
.long 0x82615B61
.long 0xBF008005
.long 0xBF8501FF
.long 0xE050D000, 0x8018700E
.long 0x81858105
.long 0x80605A60
.long 0x82615B61
.long 0xBF008005
.long 0xBF8501F3
	;; [unrolled: 6-line block ×15, first 2 shown]
.long 0x80605A60
.long 0x82615B61
.long 0xD0C6005C, 0x00000A80
.long 0xD1000047, 0x01728D0E
.long 0xE050D000, 0x80186847
.long 0xBF8C0F7E
.long 0x022AE115
.long 0x81858105
.long 0xBF05CE05
.long 0xBF850193
.long 0x80605A60
.long 0x82615B61
.long 0xD0C6005C, 0x00000A80
.long 0xD1000047, 0x01728D0E
.long 0xE050D000, 0x80187047
.long 0xBF8C0F7E
.long 0x022AF115
.long 0x81858105
.long 0xBF05CE05
.long 0xBF850186
.long 0x80605A60
.long 0x82615B61
.long 0xD0C6005C, 0x00000A80
.long 0xD1000047, 0x01728D0E
.long 0xE050D000, 0x80187847
.long 0xBF8C0F7E
.long 0x022B0115
.long 0x81858105
.long 0xBF05CE05
.long 0xBF850179
.long 0x80605A60
.long 0x82615B61
.long 0xD0C6005C, 0x00000A80
.long 0xD1000047, 0x01728D0E
.long 0xE050D000, 0x80188047
.long 0xBF8C0F7E
.long 0x022B1115
.long 0x81858105
.long 0xBF05CE05
.long 0xBF85016C
.long 0x80605A60
.long 0x82615B61
.long 0xD0C6005C, 0x00000A80
.long 0xD1000047, 0x01728D0E
.long 0xE050D000, 0x80188847
.long 0xBF8C0F7E
.long 0x022B2115
.long 0x81858105
.long 0xBF05CE05
.long 0xBF85015F
.long 0x80605A60
.long 0x82615B61
.long 0xD0C6005C, 0x00000A80
.long 0xD1000047, 0x01728D0E
.long 0xE050D000, 0x80189047
.long 0xBF8C0F7E
.long 0x022B3115
.long 0x81858105
.long 0xBF05CE05
.long 0xBF850152
.long 0x80605A60
.long 0x82615B61
.long 0xD0C6005C, 0x00000A80
.long 0xD1000047, 0x01728D0E
.long 0xE050D000, 0x80189847
.long 0xBF8C0F7E
.long 0x022B4115
.long 0x81858105
.long 0xBF05CE05
.long 0xBF850145
.long 0x80605A60
.long 0x82615B61
.long 0xD0C6005C, 0x00000A80
.long 0xD1000047, 0x01728D0E
.long 0xE050D000, 0x8018A047
.long 0xBF8C0F7E
.long 0x022B5115
.long 0x81858105
.long 0xBF05CE05
.long 0xBF850138
.long 0x80605A60
.long 0x82615B61
.long 0xD0C6005C, 0x00000A80
.long 0xD1000047, 0x01728D0E
.long 0xE050D000, 0x8018A847
.long 0xBF8C0F7E
.long 0x022B6115
.long 0x81858105
.long 0xBF05CE05
.long 0xBF85012B
.long 0x80605A60
.long 0x82615B61
.long 0xD0C6005C, 0x00000A80
.long 0xD1000047, 0x01728D0E
.long 0xE050D000, 0x8018B047
.long 0xBF8C0F7E
.long 0x022B7115
.long 0x81858105
.long 0xBF05CE05
.long 0xBF85011E
.long 0x80605A60
.long 0x82615B61
.long 0xD0C6005C, 0x00000A80
.long 0xD1000047, 0x01728D0E
.long 0xE050D000, 0x8018B847
.long 0xBF8C0F7E
.long 0x022B8115
.long 0x81858105
.long 0xBF05CE05
.long 0xBF850111
.long 0x80605A60
.long 0x82615B61
.long 0xD0C6005C, 0x00000A80
.long 0xD1000047, 0x01728D0E
.long 0xE050D000, 0x8018C047
.long 0xBF8C0F7E
.long 0x022B9115
.long 0x81858105
.long 0xBF05CE05
.long 0xBF850104
.long 0x80605A60
.long 0x82615B61
.long 0xD0C6005C, 0x00000A80
.long 0xD1000047, 0x01728D0E
.long 0xE050D000, 0x8018C847
.long 0xBF8C0F7E
.long 0x022BA115
.long 0x81858105
.long 0xBF05CE05
.long 0xBF8500F7
.long 0x80605A60
.long 0x82615B61
.long 0xD0C6005C, 0x00000A80
.long 0xD1000047, 0x01728D0E
.long 0xE050D000, 0x8018D047
.long 0xBF8C0F7E
.long 0x022BB115
.long 0x81858105
.long 0xBF05CE05
.long 0xBF8500EA
.long 0x80605A60
.long 0x82615B61
.long 0xD0C6005C, 0x00000A80
.long 0xD1000047, 0x01728D0E
.long 0xE050D000, 0x8018D847
.long 0xBF02CE05
.long 0xBF85FF3B
.long 0xBF8C0F7D
.long 0x022AD115
.long 0xBF8C0F7C
.long 0x022AE115
.long 0xBF8C0F7B
	;; [unrolled: 1-line block ×221, first 2 shown]
.long 0x7E8C02FF, 0x80000000
.long 0xBEE00016
.long 0xBEE10017
	;; [unrolled: 1-line block ×4, first 2 shown]
.long 0xE050D000, 0x80181D16
.long 0xBE850032
.long 0x81858105
.long 0x80605A60
.long 0x82615B61
.long 0xBF008005
.long 0xBF850209
.long 0xE050D000, 0x80186816
.long 0x81858105
.long 0x80605A60
.long 0x82615B61
.long 0xBF008005
.long 0xBF8501FF
.long 0xE050D000, 0x80187016
.long 0x81858105
.long 0x80605A60
.long 0x82615B61
.long 0xBF008005
.long 0xBF8501F3
	;; [unrolled: 6-line block ×15, first 2 shown]
.long 0x80605A60
.long 0x82615B61
.long 0xD0C6005C, 0x00000A80
.long 0xD1000047, 0x01728D16
.long 0xE050D000, 0x80186847
.long 0xBF8C0F7E
.long 0x023AE11D
.long 0x81858105
.long 0xBF05CE05
.long 0xBF850193
.long 0x80605A60
.long 0x82615B61
.long 0xD0C6005C, 0x00000A80
.long 0xD1000047, 0x01728D16
.long 0xE050D000, 0x80187047
.long 0xBF8C0F7E
.long 0x023AF11D
.long 0x81858105
.long 0xBF05CE05
.long 0xBF850186
	;; [unrolled: 10-line block ×15, first 2 shown]
.long 0x023AE11D
.long 0xBF8C0F7B
	;; [unrolled: 1-line block ×221, first 2 shown]
.long 0x7E8C02FF, 0x80000000
.long 0xBEE00016
.long 0xBEE10017
	;; [unrolled: 1-line block ×4, first 2 shown]
.long 0xE050D000, 0x8018251E
.long 0xBE850032
.long 0x81858105
	;; [unrolled: 1-line block ×6, first 2 shown]
.long 0xE050D000, 0x8018681E
.long 0x81858105
.long 0x80605A60
.long 0x82615B61
.long 0xBF008005
.long 0xBF8501FF
.long 0xE050D000, 0x8018701E
.long 0x81858105
.long 0x80605A60
.long 0x82615B61
.long 0xBF008005
.long 0xBF8501F3
	;; [unrolled: 6-line block ×15, first 2 shown]
.long 0x80605A60
.long 0x82615B61
.long 0xD0C6005C, 0x00000A80
.long 0xD1000047, 0x01728D1E
.long 0xE050D000, 0x80186847
.long 0xBF8C0F7E
.long 0x024AE125
.long 0x81858105
.long 0xBF05CE05
.long 0xBF850193
.long 0x80605A60
.long 0x82615B61
.long 0xD0C6005C, 0x00000A80
.long 0xD1000047, 0x01728D1E
.long 0xE050D000, 0x80187047
.long 0xBF8C0F7E
.long 0x024AF125
.long 0x81858105
.long 0xBF05CE05
.long 0xBF850186
.long 0x80605A60
.long 0x82615B61
.long 0xD0C6005C, 0x00000A80
.long 0xD1000047, 0x01728D1E
.long 0xE050D000, 0x80187847
.long 0xBF8C0F7E
.long 0x024B0125
.long 0x81858105
.long 0xBF05CE05
.long 0xBF850179
.long 0x80605A60
.long 0x82615B61
.long 0xD0C6005C, 0x00000A80
.long 0xD1000047, 0x01728D1E
.long 0xE050D000, 0x80188047
.long 0xBF8C0F7E
.long 0x024B1125
.long 0x81858105
.long 0xBF05CE05
.long 0xBF85016C
.long 0x80605A60
.long 0x82615B61
.long 0xD0C6005C, 0x00000A80
.long 0xD1000047, 0x01728D1E
.long 0xE050D000, 0x80188847
.long 0xBF8C0F7E
.long 0x024B2125
.long 0x81858105
.long 0xBF05CE05
.long 0xBF85015F
.long 0x80605A60
.long 0x82615B61
.long 0xD0C6005C, 0x00000A80
.long 0xD1000047, 0x01728D1E
.long 0xE050D000, 0x80189047
.long 0xBF8C0F7E
.long 0x024B3125
.long 0x81858105
.long 0xBF05CE05
.long 0xBF850152
.long 0x80605A60
.long 0x82615B61
.long 0xD0C6005C, 0x00000A80
.long 0xD1000047, 0x01728D1E
.long 0xE050D000, 0x80189847
.long 0xBF8C0F7E
.long 0x024B4125
.long 0x81858105
.long 0xBF05CE05
.long 0xBF850145
.long 0x80605A60
.long 0x82615B61
.long 0xD0C6005C, 0x00000A80
.long 0xD1000047, 0x01728D1E
.long 0xE050D000, 0x8018A047
.long 0xBF8C0F7E
.long 0x024B5125
.long 0x81858105
.long 0xBF05CE05
.long 0xBF850138
.long 0x80605A60
.long 0x82615B61
.long 0xD0C6005C, 0x00000A80
.long 0xD1000047, 0x01728D1E
.long 0xE050D000, 0x8018A847
.long 0xBF8C0F7E
.long 0x024B6125
.long 0x81858105
.long 0xBF05CE05
.long 0xBF85012B
.long 0x80605A60
.long 0x82615B61
.long 0xD0C6005C, 0x00000A80
.long 0xD1000047, 0x01728D1E
.long 0xE050D000, 0x8018B047
.long 0xBF8C0F7E
.long 0x024B7125
.long 0x81858105
.long 0xBF05CE05
.long 0xBF85011E
.long 0x80605A60
.long 0x82615B61
.long 0xD0C6005C, 0x00000A80
.long 0xD1000047, 0x01728D1E
.long 0xE050D000, 0x8018B847
.long 0xBF8C0F7E
.long 0x024B8125
.long 0x81858105
.long 0xBF05CE05
.long 0xBF850111
.long 0x80605A60
.long 0x82615B61
.long 0xD0C6005C, 0x00000A80
.long 0xD1000047, 0x01728D1E
.long 0xE050D000, 0x8018C047
.long 0xBF8C0F7E
.long 0x024B9125
.long 0x81858105
.long 0xBF05CE05
.long 0xBF850104
.long 0x80605A60
.long 0x82615B61
.long 0xD0C6005C, 0x00000A80
.long 0xD1000047, 0x01728D1E
.long 0xE050D000, 0x8018C847
.long 0xBF8C0F7E
.long 0x024BA125
.long 0x81858105
.long 0xBF05CE05
.long 0xBF8500F7
.long 0x80605A60
.long 0x82615B61
.long 0xD0C6005C, 0x00000A80
.long 0xD1000047, 0x01728D1E
.long 0xE050D000, 0x8018D047
.long 0xBF8C0F7E
.long 0x024BB125
.long 0x81858105
.long 0xBF05CE05
.long 0xBF8500EA
.long 0x80605A60
.long 0x82615B61
.long 0xD0C6005C, 0x00000A80
.long 0xD1000047, 0x01728D1E
.long 0xE050D000, 0x8018D847
.long 0xBF02CE05
.long 0xBF85FF3B
.long 0xBF8C0F7D
.long 0x024AD125
.long 0xBF8C0F7C
.long 0x024AE125
.long 0xBF8C0F7B
	;; [unrolled: 1-line block ×221, first 2 shown]
.long 0x7E8C02FF, 0x80000000
.long 0xBEE00016
.long 0xBEE10017
	;; [unrolled: 1-line block ×4, first 2 shown]
.long 0xE050D000, 0x80182D26
.long 0xBE850032
.long 0x81858105
	;; [unrolled: 1-line block ×6, first 2 shown]
.long 0xE050D000, 0x80186826
.long 0x81858105
.long 0x80605A60
.long 0x82615B61
.long 0xBF008005
.long 0xBF8501FF
.long 0xE050D000, 0x80187026
.long 0x81858105
.long 0x80605A60
.long 0x82615B61
.long 0xBF008005
.long 0xBF8501F3
	;; [unrolled: 6-line block ×15, first 2 shown]
.long 0x80605A60
.long 0x82615B61
.long 0xD0C6005C, 0x00000A80
.long 0xD1000047, 0x01728D26
.long 0xE050D000, 0x80186847
.long 0xBF8C0F7E
.long 0x025AE12D
.long 0x81858105
.long 0xBF05CE05
.long 0xBF850193
.long 0x80605A60
.long 0x82615B61
.long 0xD0C6005C, 0x00000A80
.long 0xD1000047, 0x01728D26
.long 0xE050D000, 0x80187047
.long 0xBF8C0F7E
.long 0x025AF12D
.long 0x81858105
.long 0xBF05CE05
.long 0xBF850186
	;; [unrolled: 10-line block ×15, first 2 shown]
.long 0x025AE12D
.long 0xBF8C0F7B
	;; [unrolled: 1-line block ×221, first 2 shown]
.long 0x7E8C02FF, 0x80000000
.long 0xBEE00016
.long 0xBEE10017
	;; [unrolled: 1-line block ×4, first 2 shown]
.long 0xE050D000, 0x8018352E
.long 0xBE850032
.long 0x81858105
	;; [unrolled: 1-line block ×6, first 2 shown]
.long 0xE050D000, 0x8018682E
.long 0x81858105
.long 0x80605A60
.long 0x82615B61
.long 0xBF008005
.long 0xBF8501FF
.long 0xE050D000, 0x8018702E
.long 0x81858105
.long 0x80605A60
.long 0x82615B61
.long 0xBF008005
.long 0xBF8501F3
	;; [unrolled: 6-line block ×15, first 2 shown]
.long 0x80605A60
.long 0x82615B61
.long 0xD0C6005C, 0x00000A80
.long 0xD1000047, 0x01728D2E
.long 0xE050D000, 0x80186847
.long 0xBF8C0F7E
.long 0x026AE135
.long 0x81858105
.long 0xBF05CE05
.long 0xBF850193
.long 0x80605A60
.long 0x82615B61
.long 0xD0C6005C, 0x00000A80
.long 0xD1000047, 0x01728D2E
.long 0xE050D000, 0x80187047
.long 0xBF8C0F7E
.long 0x026AF135
.long 0x81858105
.long 0xBF05CE05
.long 0xBF850186
	;; [unrolled: 10-line block ×15, first 2 shown]
.long 0x026AE135
.long 0xBF8C0F7B
.long 0x026AF135
.long 0xBF8C0F7A
.long 0x026B0135
.long 0xBF8C0F79
.long 0x026B1135
.long 0xBF8C0F78
.long 0x026B2135
.long 0xBF8C0F77
.long 0x026B3135
.long 0xBF8C0F76
.long 0x026B4135
.long 0xBF8C0F75
.long 0x026B5135
.long 0xBF8C0F74
.long 0x026B6135
.long 0xBF8C0F73
.long 0x026B7135
.long 0xBF8C0F72
.long 0x026B8135
.long 0xBF8C0F71
.long 0x026B9135
.long 0xBF8C0F70
.long 0x026BA135
.long 0xBF8200C3
.long 0xBF8C0F7C
.long 0x026AD135
.long 0xBF8C0F7B
.long 0x026AE135
.long 0xBF8C0F7A
.long 0x026AF135
.long 0xBF8C0F79
.long 0x026B0135
.long 0xBF8C0F78
.long 0x026B1135
.long 0xBF8C0F77
.long 0x026B2135
.long 0xBF8C0F76
.long 0x026B3135
.long 0xBF8C0F75
.long 0x026B4135
.long 0xBF8C0F74
.long 0x026B5135
.long 0xBF8C0F73
.long 0x026B6135
.long 0xBF8C0F72
.long 0x026B7135
.long 0xBF8C0F71
.long 0x026B8135
.long 0xBF8C0F70
.long 0x026B9135
.long 0xBF8200A8
.long 0xBF8C0F7B
.long 0x026AD135
.long 0xBF8C0F7A
.long 0x026AE135
.long 0xBF8C0F79
.long 0x026AF135
.long 0xBF8C0F78
.long 0x026B0135
.long 0xBF8C0F77
.long 0x026B1135
.long 0xBF8C0F76
.long 0x026B2135
.long 0xBF8C0F75
.long 0x026B3135
.long 0xBF8C0F74
.long 0x026B4135
.long 0xBF8C0F73
.long 0x026B5135
.long 0xBF8C0F72
.long 0x026B6135
.long 0xBF8C0F71
.long 0x026B7135
.long 0xBF8C0F70
.long 0x026B8135
.long 0xBF82008F
.long 0xBF8C0F7A
.long 0x026AD135
.long 0xBF8C0F79
.long 0x026AE135
.long 0xBF8C0F78
.long 0x026AF135
.long 0xBF8C0F77
.long 0x026B0135
.long 0xBF8C0F76
.long 0x026B1135
.long 0xBF8C0F75
.long 0x026B2135
.long 0xBF8C0F74
.long 0x026B3135
.long 0xBF8C0F73
.long 0x026B4135
.long 0xBF8C0F72
.long 0x026B5135
.long 0xBF8C0F71
.long 0x026B6135
.long 0xBF8C0F70
.long 0x026B7135
.long 0xBF820078
.long 0xBF8C0F79
.long 0x026AD135
.long 0xBF8C0F78
.long 0x026AE135
.long 0xBF8C0F77
.long 0x026AF135
.long 0xBF8C0F76
.long 0x026B0135
.long 0xBF8C0F75
.long 0x026B1135
.long 0xBF8C0F74
.long 0x026B2135
.long 0xBF8C0F73
.long 0x026B3135
.long 0xBF8C0F72
.long 0x026B4135
.long 0xBF8C0F71
.long 0x026B5135
.long 0xBF8C0F70
.long 0x026B6135
.long 0xBF820063
.long 0xBF8C0F78
.long 0x026AD135
.long 0xBF8C0F77
.long 0x026AE135
.long 0xBF8C0F76
.long 0x026AF135
.long 0xBF8C0F75
.long 0x026B0135
.long 0xBF8C0F74
.long 0x026B1135
.long 0xBF8C0F73
.long 0x026B2135
.long 0xBF8C0F72
.long 0x026B3135
.long 0xBF8C0F71
.long 0x026B4135
.long 0xBF8C0F70
.long 0x026B5135
.long 0xBF820050
.long 0xBF8C0F77
.long 0x026AD135
.long 0xBF8C0F76
.long 0x026AE135
.long 0xBF8C0F75
.long 0x026AF135
.long 0xBF8C0F74
.long 0x026B0135
.long 0xBF8C0F73
.long 0x026B1135
.long 0xBF8C0F72
.long 0x026B2135
.long 0xBF8C0F71
.long 0x026B3135
.long 0xBF8C0F70
.long 0x026B4135
.long 0xBF82003F
.long 0xBF8C0F76
.long 0x026AD135
.long 0xBF8C0F75
.long 0x026AE135
.long 0xBF8C0F74
.long 0x026AF135
.long 0xBF8C0F73
.long 0x026B0135
.long 0xBF8C0F72
.long 0x026B1135
.long 0xBF8C0F71
.long 0x026B2135
.long 0xBF8C0F70
.long 0x026B3135
.long 0xBF820030
.long 0xBF8C0F75
.long 0x026AD135
.long 0xBF8C0F74
.long 0x026AE135
.long 0xBF8C0F73
.long 0x026AF135
.long 0xBF8C0F72
.long 0x026B0135
.long 0xBF8C0F71
.long 0x026B1135
.long 0xBF8C0F70
.long 0x026B2135
.long 0xBF820023
.long 0xBF8C0F74
.long 0x026AD135
.long 0xBF8C0F73
.long 0x026AE135
.long 0xBF8C0F72
.long 0x026AF135
.long 0xBF8C0F71
.long 0x026B0135
.long 0xBF8C0F70
.long 0x026B1135
.long 0xBF820018
.long 0xBF8C0F73
.long 0x026AD135
.long 0xBF8C0F72
.long 0x026AE135
.long 0xBF8C0F71
.long 0x026AF135
.long 0xBF8C0F70
.long 0x026B0135
.long 0xBF82000F
.long 0xBF8C0F72
.long 0x026AD135
.long 0xBF8C0F71
.long 0x026AE135
.long 0xBF8C0F70
.long 0x026AF135
.long 0xBF820008
.long 0xBF8C0F71
.long 0x026AD135
.long 0xBF8C0F70
.long 0x026AE135
.long 0xBF820003
.long 0xBF8C0F70
.long 0x026AD135
.long 0xBF820000
.long 0x7E8C02FF, 0x80000000
.long 0xBEE00016
.long 0xBEE10017
	;; [unrolled: 1-line block ×4, first 2 shown]
.long 0xE050D000, 0x80183D36
.long 0xBE850032
.long 0x81858105
	;; [unrolled: 1-line block ×6, first 2 shown]
.long 0xE050D000, 0x80186836
.long 0x81858105
.long 0x80605A60
.long 0x82615B61
.long 0xBF008005
.long 0xBF8501FF
.long 0xE050D000, 0x80187036
.long 0x81858105
.long 0x80605A60
.long 0x82615B61
.long 0xBF008005
.long 0xBF8501F3
	;; [unrolled: 6-line block ×15, first 2 shown]
.long 0x80605A60
.long 0x82615B61
.long 0xD0C6005C, 0x00000A80
.long 0xD1000047, 0x01728D36
.long 0xE050D000, 0x80186847
.long 0xBF8C0F7E
.long 0x027AE13D
.long 0x81858105
.long 0xBF05CE05
.long 0xBF850193
.long 0x80605A60
.long 0x82615B61
.long 0xD0C6005C, 0x00000A80
.long 0xD1000047, 0x01728D36
.long 0xE050D000, 0x80187047
.long 0xBF8C0F7E
.long 0x027AF13D
.long 0x81858105
.long 0xBF05CE05
.long 0xBF850186
.long 0x80605A60
.long 0x82615B61
.long 0xD0C6005C, 0x00000A80
.long 0xD1000047, 0x01728D36
.long 0xE050D000, 0x80187847
.long 0xBF8C0F7E
.long 0x027B013D
.long 0x81858105
.long 0xBF05CE05
.long 0xBF850179
.long 0x80605A60
.long 0x82615B61
.long 0xD0C6005C, 0x00000A80
.long 0xD1000047, 0x01728D36
.long 0xE050D000, 0x80188047
.long 0xBF8C0F7E
.long 0x027B113D
.long 0x81858105
.long 0xBF05CE05
.long 0xBF85016C
.long 0x80605A60
.long 0x82615B61
.long 0xD0C6005C, 0x00000A80
.long 0xD1000047, 0x01728D36
.long 0xE050D000, 0x80188847
.long 0xBF8C0F7E
.long 0x027B213D
.long 0x81858105
.long 0xBF05CE05
.long 0xBF85015F
.long 0x80605A60
.long 0x82615B61
.long 0xD0C6005C, 0x00000A80
.long 0xD1000047, 0x01728D36
.long 0xE050D000, 0x80189047
.long 0xBF8C0F7E
.long 0x027B313D
.long 0x81858105
.long 0xBF05CE05
.long 0xBF850152
.long 0x80605A60
.long 0x82615B61
.long 0xD0C6005C, 0x00000A80
.long 0xD1000047, 0x01728D36
.long 0xE050D000, 0x80189847
.long 0xBF8C0F7E
.long 0x027B413D
.long 0x81858105
.long 0xBF05CE05
.long 0xBF850145
.long 0x80605A60
.long 0x82615B61
.long 0xD0C6005C, 0x00000A80
.long 0xD1000047, 0x01728D36
.long 0xE050D000, 0x8018A047
.long 0xBF8C0F7E
.long 0x027B513D
.long 0x81858105
.long 0xBF05CE05
.long 0xBF850138
.long 0x80605A60
.long 0x82615B61
.long 0xD0C6005C, 0x00000A80
.long 0xD1000047, 0x01728D36
.long 0xE050D000, 0x8018A847
.long 0xBF8C0F7E
.long 0x027B613D
.long 0x81858105
.long 0xBF05CE05
.long 0xBF85012B
.long 0x80605A60
.long 0x82615B61
.long 0xD0C6005C, 0x00000A80
.long 0xD1000047, 0x01728D36
.long 0xE050D000, 0x8018B047
.long 0xBF8C0F7E
.long 0x027B713D
.long 0x81858105
.long 0xBF05CE05
.long 0xBF85011E
.long 0x80605A60
.long 0x82615B61
.long 0xD0C6005C, 0x00000A80
.long 0xD1000047, 0x01728D36
.long 0xE050D000, 0x8018B847
.long 0xBF8C0F7E
.long 0x027B813D
.long 0x81858105
.long 0xBF05CE05
.long 0xBF850111
.long 0x80605A60
.long 0x82615B61
.long 0xD0C6005C, 0x00000A80
.long 0xD1000047, 0x01728D36
.long 0xE050D000, 0x8018C047
.long 0xBF8C0F7E
.long 0x027B913D
.long 0x81858105
.long 0xBF05CE05
.long 0xBF850104
.long 0x80605A60
.long 0x82615B61
.long 0xD0C6005C, 0x00000A80
.long 0xD1000047, 0x01728D36
.long 0xE050D000, 0x8018C847
.long 0xBF8C0F7E
.long 0x027BA13D
.long 0x81858105
.long 0xBF05CE05
.long 0xBF8500F7
.long 0x80605A60
.long 0x82615B61
.long 0xD0C6005C, 0x00000A80
.long 0xD1000047, 0x01728D36
.long 0xE050D000, 0x8018D047
.long 0xBF8C0F7E
.long 0x027BB13D
.long 0x81858105
.long 0xBF05CE05
.long 0xBF8500EA
.long 0x80605A60
.long 0x82615B61
.long 0xD0C6005C, 0x00000A80
.long 0xD1000047, 0x01728D36
.long 0xE050D000, 0x8018D847
.long 0xBF02CE05
.long 0xBF85FF3B
.long 0xBF8C0F7D
.long 0x027AD13D
.long 0xBF8C0F7C
.long 0x027AE13D
.long 0xBF8C0F7B
	;; [unrolled: 1-line block ×221, first 2 shown]
.long 0x7E8C02FF, 0x80000000
.long 0xBEE00016
.long 0xBEE10017
	;; [unrolled: 1-line block ×4, first 2 shown]
.long 0xE050D000, 0x8018453E
.long 0xBE850032
.long 0x81858105
	;; [unrolled: 1-line block ×6, first 2 shown]
.long 0xE050D000, 0x8018683E
.long 0x81858105
.long 0x80605A60
.long 0x82615B61
.long 0xBF008005
.long 0xBF8501FF
.long 0xE050D000, 0x8018703E
.long 0x81858105
.long 0x80605A60
.long 0x82615B61
.long 0xBF008005
.long 0xBF8501F3
.long 0xE050D000, 0x8018783E
.long 0x81858105
.long 0x80605A60
.long 0x82615B61
.long 0xBF008005
.long 0xBF8501E5
.long 0xE050D000, 0x8018803E
.long 0x81858105
.long 0x80605A60
.long 0x82615B61
.long 0xBF008005
.long 0xBF8501D5
.long 0xE050D000, 0x8018883E
.long 0x81858105
.long 0x80605A60
.long 0x82615B61
.long 0xBF008005
.long 0xBF8501C3
.long 0xE050D000, 0x8018903E
.long 0x81858105
.long 0x80605A60
.long 0x82615B61
.long 0xBF008005
.long 0xBF8501AF
.long 0xE050D000, 0x8018983E
.long 0x81858105
.long 0x80605A60
.long 0x82615B61
.long 0xBF008005
.long 0xBF850199
.long 0xE050D000, 0x8018A03E
.long 0x81858105
.long 0x80605A60
.long 0x82615B61
.long 0xBF008005
.long 0xBF850181
.long 0xE050D000, 0x8018A83E
.long 0x81858105
.long 0x80605A60
.long 0x82615B61
.long 0xBF008005
.long 0xBF850167
.long 0xE050D000, 0x8018B03E
.long 0x81858105
.long 0x80605A60
.long 0x82615B61
.long 0xBF008005
.long 0xBF85014B
.long 0xE050D000, 0x8018B83E
.long 0x81858105
.long 0x80605A60
.long 0x82615B61
.long 0xBF008005
.long 0xBF85012D
.long 0xE050D000, 0x8018C03E
.long 0x81858105
.long 0x80605A60
.long 0x82615B61
.long 0xBF008005
.long 0xBF85010D
.long 0xE050D000, 0x8018C83E
.long 0x81858105
.long 0x80605A60
.long 0x82615B61
.long 0xBF008005
.long 0xBF8500EB
.long 0xE050D000, 0x8018D03E
.long 0x81858105
.long 0x80605A60
.long 0x82615B61
.long 0xBF008005
.long 0xBF8500C7
.long 0xE050D000, 0x8018D83E
.long 0xBF8C0F7E
.long 0x028AD145
.long 0x81858105
.long 0xBF05CE05
.long 0xBF8501A0
.long 0x80605A60
.long 0x82615B61
.long 0xD0C6005C, 0x00000A80
.long 0xD1000047, 0x01728D3E
.long 0xE050D000, 0x80186847
.long 0xBF8C0F7E
.long 0x028AE145
.long 0x81858105
.long 0xBF05CE05
.long 0xBF850193
.long 0x80605A60
.long 0x82615B61
.long 0xD0C6005C, 0x00000A80
.long 0xD1000047, 0x01728D3E
.long 0xE050D000, 0x80187047
.long 0xBF8C0F7E
.long 0x028AF145
.long 0x81858105
.long 0xBF05CE05
.long 0xBF850186
	;; [unrolled: 10-line block ×15, first 2 shown]
.long 0x028AE145
.long 0xBF8C0F7B
	;; [unrolled: 1-line block ×230, first 2 shown]
.long 0xD0CC0038, 0x0001004A
.long 0xD100000C, 0x00E218F2
.long 0x0A1A1B0C
.long 0xD3A0000D, 0x14361431
.long 0x021A1B0B
.long 0x0A081AFF, 0x3D372713
.long 0xD1CB0004, 0x03CA090D
.long 0x0A08090D
.long 0x0A0808FF, 0x40135761
.long 0x7E084104
.long 0xBF800000
.long 0x020808F2
.long 0x7E084504
.long 0xBF800000
.long 0xD1CB0004, 0x03D208F5
.long 0x0A08090D
.long 0x0A1A08F0
.long 0x7E1A150D
.long 0xE068D000, 0x80140D07
.long 0xBF800000
.long 0xD0CC0038, 0x0001004A
.long 0xD1000014, 0x00E228F2
.long 0x0A2A2B14
.long 0xD3A01015, 0x14562431
.long 0x022A2B13
.long 0x0A082AFF, 0x3D372713
.long 0xD1CB0004, 0x03CA0915
.long 0x0A080915
.long 0x0A0808FF, 0x40135761
.long 0x7E084104
.long 0xBF800000
.long 0x020808F2
.long 0x7E084504
.long 0xBF800000
.long 0xD1CB0004, 0x03D208F5
.long 0x0A080915
.long 0x0A2A08F0
.long 0x7E2A1515
.long 0xE068D000, 0x8014150F
.long 0xBF800000
	;; [unrolled: 20-line block ×8, first 2 shown]
.long 0xBF800000
.long 0xBED41C00
.long 0x815684FF, 0x0001763C
.long 0x80545654
.long 0x82558055
	;; [unrolled: 1-line block ×3, first 2 shown]
.long 0x7E8C02FF, 0x80000000
.long 0xD0C90054, 0x00003900
	;; [unrolled: 1-line block ×3, first 2 shown]
.long 0x86D85854
.long 0xD1FE0006, 0x02060102
.long 0xD1000006, 0x01620D46
	;; [unrolled: 1-line block ×5, first 2 shown]
.long 0x24101082
.long 0xD1000008, 0x01621146
.long 0xBF8CC07F
.long 0xBF8A0000
.long 0xD86C0000, 0x0B000008
.long 0x24120082
.long 0xE0501000, 0x80120C09
.long 0xD1FE0006, 0x020A0103
.long 0xD1000006, 0x01620D46
.long 0xD1FE0007, 0x02060103
.long 0xD1000007, 0x01620F46
.long 0xD1196A04, 0x00010300
.long 0xD0C90054, 0x00003904
.long 0xD0C90058, 0x00003B01
.long 0x86D85854
.long 0xD1FE000E, 0x02060902
.long 0xD100000E, 0x01621D46
.long 0xE0941000, 0x8004120E
.long 0x925402FF, 0x00000080
.long 0xD1350010, 0x0000A904
.long 0x24202082
.long 0xD1000010, 0x01622146
.long 0xD86C0000, 0x13000010
.long 0x24220882
.long 0xE0501000, 0x80121411
.long 0xD1FE000E, 0x020A0903
.long 0xD100000E, 0x01621D46
.long 0xD1FE000F, 0x02060903
.long 0xD100000F, 0x01621F46
.long 0xD1196A04, 0x00010500
.long 0xD0C90054, 0x00003904
.long 0xD0C90058, 0x00003B01
.long 0x86D85854
.long 0xD1FE0016, 0x02060902
.long 0xD1000016, 0x01622D46
.long 0xE0901000, 0x80041A16
.long 0x925402FF, 0x00000080
.long 0xD1350018, 0x0000A904
.long 0x24303082
.long 0xD1000018, 0x01623146
	;; [unrolled: 18-line block ×7, first 2 shown]
.long 0xD86C0000, 0x43000040
.long 0x24820882
.long 0xE0501000, 0x80124441
.long 0xD1FE003E, 0x020A0903
	;; [unrolled: 1-line block ×13, first 2 shown]
.long 0xBF800001
.long 0xE070D000, 0x80030D06
.long 0xE070D000, 0x8003150E
	;; [unrolled: 1-line block ×8, first 2 shown]
.long 0xBF800000
.long 0x92421415
	;; [unrolled: 1-line block ×16, first 2 shown]
.long 0xC2330CCC, 0x00000000
.long 0x965F811C
.long 0x925E811C
	;; [unrolled: 1-line block ×15, first 2 shown]
.long 0x7E8C02FF, 0x80000000
.long 0xBEE00016
.long 0xBEE10017
	;; [unrolled: 1-line block ×7, first 2 shown]
.long 0xE050D000, 0x80180D06
.long 0xBE850032
.long 0x81858105
	;; [unrolled: 1-line block ×6, first 2 shown]
.long 0xE050D000, 0x80186806
.long 0x81858105
.long 0x80605A60
.long 0x82615B61
.long 0xBF008005
.long 0xBF8501FF
.long 0xE050D000, 0x80187006
.long 0x81858105
.long 0x80605A60
.long 0x82615B61
.long 0xBF008005
.long 0xBF8501F3
	;; [unrolled: 6-line block ×15, first 2 shown]
.long 0x80605A60
.long 0x82615B61
.long 0xD0C6005C, 0x00000A80
.long 0xD1000047, 0x01728D06
.long 0xE050D000, 0x80186847
.long 0xBF8C0F7E
.long 0x021AE10D
.long 0x81858105
.long 0xBF05CE05
.long 0xBF850193
.long 0x80605A60
.long 0x82615B61
.long 0xD0C6005C, 0x00000A80
.long 0xD1000047, 0x01728D06
.long 0xE050D000, 0x80187047
.long 0xBF8C0F7E
.long 0x021AF10D
.long 0x81858105
.long 0xBF05CE05
.long 0xBF850186
	;; [unrolled: 10-line block ×15, first 2 shown]
.long 0x021AE10D
.long 0xBF8C0F7B
	;; [unrolled: 1-line block ×221, first 2 shown]
.long 0x7E8C02FF, 0x80000000
.long 0xBEE00016
.long 0xBEE10017
	;; [unrolled: 1-line block ×4, first 2 shown]
.long 0xE050D000, 0x8018150E
.long 0xBE850032
.long 0x81858105
.long 0x80605A60
.long 0x82615B61
.long 0xBF008005
.long 0xBF850209
.long 0xE050D000, 0x8018680E
.long 0x81858105
.long 0x80605A60
.long 0x82615B61
.long 0xBF008005
.long 0xBF8501FF
.long 0xE050D000, 0x8018700E
.long 0x81858105
.long 0x80605A60
.long 0x82615B61
.long 0xBF008005
.long 0xBF8501F3
	;; [unrolled: 6-line block ×15, first 2 shown]
.long 0x80605A60
.long 0x82615B61
.long 0xD0C6005C, 0x00000A80
.long 0xD1000047, 0x01728D0E
.long 0xE050D000, 0x80186847
.long 0xBF8C0F7E
.long 0x022AE115
.long 0x81858105
.long 0xBF05CE05
.long 0xBF850193
.long 0x80605A60
.long 0x82615B61
.long 0xD0C6005C, 0x00000A80
.long 0xD1000047, 0x01728D0E
.long 0xE050D000, 0x80187047
.long 0xBF8C0F7E
.long 0x022AF115
.long 0x81858105
.long 0xBF05CE05
.long 0xBF850186
	;; [unrolled: 10-line block ×15, first 2 shown]
.long 0x022AE115
.long 0xBF8C0F7B
	;; [unrolled: 1-line block ×221, first 2 shown]
.long 0x7E8C02FF, 0x80000000
.long 0xBEE00016
.long 0xBEE10017
	;; [unrolled: 1-line block ×4, first 2 shown]
.long 0xE050D000, 0x80181D16
.long 0xBE850032
.long 0x81858105
	;; [unrolled: 1-line block ×6, first 2 shown]
.long 0xE050D000, 0x80186816
.long 0x81858105
.long 0x80605A60
.long 0x82615B61
.long 0xBF008005
.long 0xBF8501FF
.long 0xE050D000, 0x80187016
.long 0x81858105
.long 0x80605A60
.long 0x82615B61
.long 0xBF008005
.long 0xBF8501F3
	;; [unrolled: 6-line block ×15, first 2 shown]
.long 0x80605A60
.long 0x82615B61
.long 0xD0C6005C, 0x00000A80
.long 0xD1000047, 0x01728D16
.long 0xE050D000, 0x80186847
.long 0xBF8C0F7E
.long 0x023AE11D
.long 0x81858105
.long 0xBF05CE05
.long 0xBF850193
.long 0x80605A60
.long 0x82615B61
.long 0xD0C6005C, 0x00000A80
.long 0xD1000047, 0x01728D16
.long 0xE050D000, 0x80187047
.long 0xBF8C0F7E
.long 0x023AF11D
.long 0x81858105
.long 0xBF05CE05
.long 0xBF850186
	;; [unrolled: 10-line block ×15, first 2 shown]
.long 0x023AE11D
.long 0xBF8C0F7B
	;; [unrolled: 1-line block ×221, first 2 shown]
.long 0x7E8C02FF, 0x80000000
.long 0xBEE00016
.long 0xBEE10017
	;; [unrolled: 1-line block ×4, first 2 shown]
.long 0xE050D000, 0x8018251E
.long 0xBE850032
.long 0x81858105
	;; [unrolled: 1-line block ×6, first 2 shown]
.long 0xE050D000, 0x8018681E
.long 0x81858105
.long 0x80605A60
.long 0x82615B61
.long 0xBF008005
.long 0xBF8501FF
.long 0xE050D000, 0x8018701E
.long 0x81858105
.long 0x80605A60
.long 0x82615B61
.long 0xBF008005
.long 0xBF8501F3
	;; [unrolled: 6-line block ×15, first 2 shown]
.long 0x80605A60
.long 0x82615B61
.long 0xD0C6005C, 0x00000A80
.long 0xD1000047, 0x01728D1E
.long 0xE050D000, 0x80186847
.long 0xBF8C0F7E
.long 0x024AE125
.long 0x81858105
.long 0xBF05CE05
.long 0xBF850193
.long 0x80605A60
.long 0x82615B61
.long 0xD0C6005C, 0x00000A80
.long 0xD1000047, 0x01728D1E
.long 0xE050D000, 0x80187047
.long 0xBF8C0F7E
.long 0x024AF125
.long 0x81858105
.long 0xBF05CE05
.long 0xBF850186
	;; [unrolled: 10-line block ×15, first 2 shown]
.long 0x024AE125
.long 0xBF8C0F7B
.long 0x024AF125
.long 0xBF8C0F7A
.long 0x024B0125
.long 0xBF8C0F79
.long 0x024B1125
.long 0xBF8C0F78
.long 0x024B2125
.long 0xBF8C0F77
.long 0x024B3125
.long 0xBF8C0F76
.long 0x024B4125
.long 0xBF8C0F75
.long 0x024B5125
.long 0xBF8C0F74
.long 0x024B6125
.long 0xBF8C0F73
.long 0x024B7125
.long 0xBF8C0F72
.long 0x024B8125
.long 0xBF8C0F71
.long 0x024B9125
.long 0xBF8C0F70
.long 0x024BA125
.long 0xBF8200C3
.long 0xBF8C0F7C
.long 0x024AD125
.long 0xBF8C0F7B
.long 0x024AE125
.long 0xBF8C0F7A
.long 0x024AF125
.long 0xBF8C0F79
.long 0x024B0125
.long 0xBF8C0F78
.long 0x024B1125
.long 0xBF8C0F77
.long 0x024B2125
.long 0xBF8C0F76
.long 0x024B3125
.long 0xBF8C0F75
.long 0x024B4125
.long 0xBF8C0F74
.long 0x024B5125
.long 0xBF8C0F73
.long 0x024B6125
.long 0xBF8C0F72
.long 0x024B7125
.long 0xBF8C0F71
.long 0x024B8125
.long 0xBF8C0F70
.long 0x024B9125
.long 0xBF8200A8
.long 0xBF8C0F7B
.long 0x024AD125
.long 0xBF8C0F7A
.long 0x024AE125
.long 0xBF8C0F79
.long 0x024AF125
.long 0xBF8C0F78
.long 0x024B0125
.long 0xBF8C0F77
.long 0x024B1125
.long 0xBF8C0F76
.long 0x024B2125
.long 0xBF8C0F75
.long 0x024B3125
.long 0xBF8C0F74
.long 0x024B4125
.long 0xBF8C0F73
.long 0x024B5125
.long 0xBF8C0F72
.long 0x024B6125
.long 0xBF8C0F71
.long 0x024B7125
.long 0xBF8C0F70
.long 0x024B8125
.long 0xBF82008F
.long 0xBF8C0F7A
.long 0x024AD125
.long 0xBF8C0F79
.long 0x024AE125
.long 0xBF8C0F78
.long 0x024AF125
.long 0xBF8C0F77
.long 0x024B0125
.long 0xBF8C0F76
.long 0x024B1125
.long 0xBF8C0F75
.long 0x024B2125
.long 0xBF8C0F74
.long 0x024B3125
.long 0xBF8C0F73
.long 0x024B4125
.long 0xBF8C0F72
.long 0x024B5125
.long 0xBF8C0F71
.long 0x024B6125
.long 0xBF8C0F70
.long 0x024B7125
.long 0xBF820078
.long 0xBF8C0F79
.long 0x024AD125
.long 0xBF8C0F78
.long 0x024AE125
.long 0xBF8C0F77
.long 0x024AF125
.long 0xBF8C0F76
.long 0x024B0125
.long 0xBF8C0F75
.long 0x024B1125
.long 0xBF8C0F74
.long 0x024B2125
.long 0xBF8C0F73
.long 0x024B3125
.long 0xBF8C0F72
.long 0x024B4125
.long 0xBF8C0F71
.long 0x024B5125
.long 0xBF8C0F70
.long 0x024B6125
.long 0xBF820063
.long 0xBF8C0F78
.long 0x024AD125
.long 0xBF8C0F77
.long 0x024AE125
.long 0xBF8C0F76
.long 0x024AF125
.long 0xBF8C0F75
.long 0x024B0125
.long 0xBF8C0F74
.long 0x024B1125
.long 0xBF8C0F73
.long 0x024B2125
.long 0xBF8C0F72
.long 0x024B3125
.long 0xBF8C0F71
.long 0x024B4125
.long 0xBF8C0F70
.long 0x024B5125
.long 0xBF820050
.long 0xBF8C0F77
.long 0x024AD125
.long 0xBF8C0F76
.long 0x024AE125
.long 0xBF8C0F75
.long 0x024AF125
.long 0xBF8C0F74
.long 0x024B0125
.long 0xBF8C0F73
.long 0x024B1125
.long 0xBF8C0F72
.long 0x024B2125
.long 0xBF8C0F71
.long 0x024B3125
.long 0xBF8C0F70
.long 0x024B4125
.long 0xBF82003F
.long 0xBF8C0F76
.long 0x024AD125
.long 0xBF8C0F75
.long 0x024AE125
.long 0xBF8C0F74
.long 0x024AF125
.long 0xBF8C0F73
.long 0x024B0125
.long 0xBF8C0F72
.long 0x024B1125
.long 0xBF8C0F71
.long 0x024B2125
.long 0xBF8C0F70
.long 0x024B3125
.long 0xBF820030
.long 0xBF8C0F75
.long 0x024AD125
.long 0xBF8C0F74
.long 0x024AE125
.long 0xBF8C0F73
.long 0x024AF125
.long 0xBF8C0F72
.long 0x024B0125
.long 0xBF8C0F71
.long 0x024B1125
.long 0xBF8C0F70
.long 0x024B2125
.long 0xBF820023
.long 0xBF8C0F74
.long 0x024AD125
.long 0xBF8C0F73
.long 0x024AE125
.long 0xBF8C0F72
.long 0x024AF125
.long 0xBF8C0F71
.long 0x024B0125
.long 0xBF8C0F70
.long 0x024B1125
.long 0xBF820018
.long 0xBF8C0F73
.long 0x024AD125
.long 0xBF8C0F72
.long 0x024AE125
.long 0xBF8C0F71
.long 0x024AF125
.long 0xBF8C0F70
.long 0x024B0125
.long 0xBF82000F
.long 0xBF8C0F72
.long 0x024AD125
.long 0xBF8C0F71
.long 0x024AE125
.long 0xBF8C0F70
.long 0x024AF125
.long 0xBF820008
.long 0xBF8C0F71
.long 0x024AD125
.long 0xBF8C0F70
.long 0x024AE125
.long 0xBF820003
.long 0xBF8C0F70
.long 0x024AD125
.long 0xBF820000
.long 0x7E8C02FF, 0x80000000
.long 0xBEE00016
.long 0xBEE10017
.long 0xBEE2000E
.long 0xBEE3000F
.long 0xE050D000, 0x80182D26
.long 0xBE850032
.long 0x81858105
	;; [unrolled: 1-line block ×6, first 2 shown]
.long 0xE050D000, 0x80186826
.long 0x81858105
.long 0x80605A60
.long 0x82615B61
.long 0xBF008005
.long 0xBF8501FF
.long 0xE050D000, 0x80187026
.long 0x81858105
.long 0x80605A60
.long 0x82615B61
.long 0xBF008005
.long 0xBF8501F3
	;; [unrolled: 6-line block ×15, first 2 shown]
.long 0x80605A60
.long 0x82615B61
.long 0xD0C6005C, 0x00000A80
.long 0xD1000047, 0x01728D26
.long 0xE050D000, 0x80186847
.long 0xBF8C0F7E
.long 0x025AE12D
.long 0x81858105
.long 0xBF05CE05
.long 0xBF850193
.long 0x80605A60
.long 0x82615B61
.long 0xD0C6005C, 0x00000A80
.long 0xD1000047, 0x01728D26
.long 0xE050D000, 0x80187047
.long 0xBF8C0F7E
.long 0x025AF12D
.long 0x81858105
.long 0xBF05CE05
.long 0xBF850186
	;; [unrolled: 10-line block ×15, first 2 shown]
.long 0x025AE12D
.long 0xBF8C0F7B
	;; [unrolled: 1-line block ×221, first 2 shown]
.long 0x7E8C02FF, 0x80000000
.long 0xBEE00016
.long 0xBEE10017
	;; [unrolled: 1-line block ×4, first 2 shown]
.long 0xE050D000, 0x8018352E
.long 0xBE850032
.long 0x81858105
	;; [unrolled: 1-line block ×6, first 2 shown]
.long 0xE050D000, 0x8018682E
.long 0x81858105
.long 0x80605A60
.long 0x82615B61
.long 0xBF008005
.long 0xBF8501FF
.long 0xE050D000, 0x8018702E
.long 0x81858105
.long 0x80605A60
.long 0x82615B61
.long 0xBF008005
.long 0xBF8501F3
	;; [unrolled: 6-line block ×15, first 2 shown]
.long 0x80605A60
.long 0x82615B61
.long 0xD0C6005C, 0x00000A80
.long 0xD1000047, 0x01728D2E
.long 0xE050D000, 0x80186847
.long 0xBF8C0F7E
.long 0x026AE135
.long 0x81858105
.long 0xBF05CE05
.long 0xBF850193
.long 0x80605A60
.long 0x82615B61
.long 0xD0C6005C, 0x00000A80
.long 0xD1000047, 0x01728D2E
.long 0xE050D000, 0x80187047
.long 0xBF8C0F7E
.long 0x026AF135
.long 0x81858105
.long 0xBF05CE05
.long 0xBF850186
	;; [unrolled: 10-line block ×15, first 2 shown]
.long 0x026AE135
.long 0xBF8C0F7B
	;; [unrolled: 1-line block ×221, first 2 shown]
.long 0x7E8C02FF, 0x80000000
.long 0xBEE00016
.long 0xBEE10017
	;; [unrolled: 1-line block ×4, first 2 shown]
.long 0xE050D000, 0x80183D36
.long 0xBE850032
.long 0x81858105
	;; [unrolled: 1-line block ×6, first 2 shown]
.long 0xE050D000, 0x80186836
.long 0x81858105
.long 0x80605A60
.long 0x82615B61
.long 0xBF008005
.long 0xBF8501FF
.long 0xE050D000, 0x80187036
.long 0x81858105
.long 0x80605A60
.long 0x82615B61
.long 0xBF008005
.long 0xBF8501F3
	;; [unrolled: 6-line block ×15, first 2 shown]
.long 0x80605A60
.long 0x82615B61
.long 0xD0C6005C, 0x00000A80
.long 0xD1000047, 0x01728D36
.long 0xE050D000, 0x80186847
.long 0xBF8C0F7E
.long 0x027AE13D
.long 0x81858105
.long 0xBF05CE05
.long 0xBF850193
.long 0x80605A60
.long 0x82615B61
.long 0xD0C6005C, 0x00000A80
.long 0xD1000047, 0x01728D36
.long 0xE050D000, 0x80187047
.long 0xBF8C0F7E
.long 0x027AF13D
.long 0x81858105
.long 0xBF05CE05
.long 0xBF850186
	;; [unrolled: 10-line block ×15, first 2 shown]
.long 0x027AE13D
.long 0xBF8C0F7B
	;; [unrolled: 1-line block ×221, first 2 shown]
.long 0x7E8C02FF, 0x80000000
.long 0xBEE00016
.long 0xBEE10017
	;; [unrolled: 1-line block ×4, first 2 shown]
.long 0xE050D000, 0x8018453E
.long 0xBE850032
.long 0x81858105
	;; [unrolled: 1-line block ×6, first 2 shown]
.long 0xE050D000, 0x8018683E
.long 0x81858105
.long 0x80605A60
.long 0x82615B61
.long 0xBF008005
.long 0xBF8501FF
.long 0xE050D000, 0x8018703E
.long 0x81858105
.long 0x80605A60
.long 0x82615B61
.long 0xBF008005
.long 0xBF8501F3
	;; [unrolled: 6-line block ×15, first 2 shown]
.long 0x80605A60
.long 0x82615B61
.long 0xD0C6005C, 0x00000A80
.long 0xD1000047, 0x01728D3E
.long 0xE050D000, 0x80186847
.long 0xBF8C0F7E
.long 0x028AE145
.long 0x81858105
.long 0xBF05CE05
.long 0xBF850193
.long 0x80605A60
.long 0x82615B61
.long 0xD0C6005C, 0x00000A80
.long 0xD1000047, 0x01728D3E
.long 0xE050D000, 0x80187047
.long 0xBF8C0F7E
.long 0x028AF145
.long 0x81858105
.long 0xBF05CE05
.long 0xBF850186
	;; [unrolled: 10-line block ×15, first 2 shown]
.long 0x028AE145
.long 0xBF8C0F7B
	;; [unrolled: 1-line block ×230, first 2 shown]
.long 0xD0CC0038, 0x0001004A
.long 0xD100000C, 0x00E218F2
.long 0x0A1A1B0C
.long 0xD3A0000D, 0x14361431
.long 0x021A1B0B
.long 0x0A081A3E
.long 0xD046006A, 0x0001010D
.long 0x001A1B04
.long 0x7E1A150D
.long 0xE068D000, 0x80140D07
.long 0xBF800000
.long 0xD0CC0038, 0x0001004A
.long 0xD1000014, 0x00E228F2
.long 0x0A2A2B14
.long 0xD3A01015, 0x14562431
.long 0x022A2B13
.long 0x0A082A3E
.long 0xD046006A, 0x00010115
.long 0x002A2B04
.long 0x7E2A1515
.long 0xE068D000, 0x8014150F
.long 0xBF800000
	;; [unrolled: 11-line block ×8, first 2 shown]
.long 0xBF800000
.long 0xBED41C00
.long 0x815684FF, 0x00012BE0
.long 0x80545654
.long 0x82558055
	;; [unrolled: 1-line block ×3, first 2 shown]
.long 0x7E8C02FF, 0x80000000
.long 0xD0C90054, 0x00003900
	;; [unrolled: 1-line block ×3, first 2 shown]
.long 0x86D85854
.long 0xD1FE0006, 0x02060102
.long 0xD1000006, 0x01620D46
	;; [unrolled: 1-line block ×5, first 2 shown]
.long 0x24101082
.long 0xD1000008, 0x01621146
.long 0xBF8CC07F
.long 0xBF8A0000
.long 0xD86C0000, 0x0B000008
.long 0x24120082
.long 0xE0501000, 0x80120C09
.long 0xD1FE0006, 0x020A0103
.long 0xD1000006, 0x01620D46
.long 0xD1FE0007, 0x02060103
.long 0xD1000007, 0x01620F46
.long 0xD1196A04, 0x00010300
.long 0xD0C90054, 0x00003904
.long 0xD0C90058, 0x00003B01
.long 0x86D85854
.long 0xD1FE000E, 0x02060902
.long 0xD100000E, 0x01621D46
.long 0xE0941000, 0x8004120E
.long 0x925402FF, 0x00000080
.long 0xD1350010, 0x0000A904
.long 0x24202082
.long 0xD1000010, 0x01622146
.long 0xD86C0000, 0x13000010
.long 0x24220882
.long 0xE0501000, 0x80121411
.long 0xD1FE000E, 0x020A0903
.long 0xD100000E, 0x01621D46
.long 0xD1FE000F, 0x02060903
.long 0xD100000F, 0x01621F46
.long 0xD1196A04, 0x00010500
.long 0xD0C90054, 0x00003904
.long 0xD0C90058, 0x00003B01
.long 0x86D85854
.long 0xD1FE0016, 0x02060902
.long 0xD1000016, 0x01622D46
.long 0xE0901000, 0x80041A16
.long 0x925402FF, 0x00000080
.long 0xD1350018, 0x0000A904
.long 0x24303082
.long 0xD1000018, 0x01623146
	;; [unrolled: 18-line block ×7, first 2 shown]
.long 0xD86C0000, 0x43000040
.long 0x24820882
.long 0xE0501000, 0x80124441
.long 0xD1FE003E, 0x020A0903
	;; [unrolled: 1-line block ×13, first 2 shown]
.long 0xBF800001
.long 0xE070D000, 0x80030D06
.long 0xE070D000, 0x8003150E
	;; [unrolled: 1-line block ×8, first 2 shown]
.long 0xBF800000
.long 0x92421415
	;; [unrolled: 1-line block ×16, first 2 shown]
.long 0xC2330CCC, 0x00000000
.long 0x965F811C
.long 0x925E811C
	;; [unrolled: 1-line block ×15, first 2 shown]
.long 0x7E8C02FF, 0x80000000
.long 0xBEE00016
.long 0xBEE10017
	;; [unrolled: 1-line block ×7, first 2 shown]
.long 0xE050D000, 0x80180D06
.long 0xBE850032
.long 0x81858105
	;; [unrolled: 1-line block ×6, first 2 shown]
.long 0xE050D000, 0x80186806
.long 0x81858105
.long 0x80605A60
.long 0x82615B61
.long 0xBF008005
.long 0xBF8501FF
.long 0xE050D000, 0x80187006
.long 0x81858105
.long 0x80605A60
.long 0x82615B61
.long 0xBF008005
.long 0xBF8501F3
	;; [unrolled: 6-line block ×15, first 2 shown]
.long 0x80605A60
.long 0x82615B61
.long 0xD0C6005C, 0x00000A80
.long 0xD1000047, 0x01728D06
.long 0xE050D000, 0x80186847
.long 0xBF8C0F7E
.long 0x021AE10D
.long 0x81858105
.long 0xBF05CE05
.long 0xBF850193
.long 0x80605A60
.long 0x82615B61
.long 0xD0C6005C, 0x00000A80
.long 0xD1000047, 0x01728D06
.long 0xE050D000, 0x80187047
.long 0xBF8C0F7E
.long 0x021AF10D
.long 0x81858105
.long 0xBF05CE05
.long 0xBF850186
	;; [unrolled: 10-line block ×15, first 2 shown]
.long 0x021AE10D
.long 0xBF8C0F7B
	;; [unrolled: 1-line block ×221, first 2 shown]
.long 0x7E8C02FF, 0x80000000
.long 0xBEE00016
.long 0xBEE10017
	;; [unrolled: 1-line block ×4, first 2 shown]
.long 0xE050D000, 0x8018150E
.long 0xBE850032
.long 0x81858105
	;; [unrolled: 1-line block ×6, first 2 shown]
.long 0xE050D000, 0x8018680E
.long 0x81858105
.long 0x80605A60
.long 0x82615B61
.long 0xBF008005
.long 0xBF8501FF
.long 0xE050D000, 0x8018700E
.long 0x81858105
.long 0x80605A60
.long 0x82615B61
.long 0xBF008005
.long 0xBF8501F3
	;; [unrolled: 6-line block ×15, first 2 shown]
.long 0x80605A60
.long 0x82615B61
.long 0xD0C6005C, 0x00000A80
.long 0xD1000047, 0x01728D0E
.long 0xE050D000, 0x80186847
.long 0xBF8C0F7E
.long 0x022AE115
.long 0x81858105
.long 0xBF05CE05
.long 0xBF850193
.long 0x80605A60
.long 0x82615B61
.long 0xD0C6005C, 0x00000A80
.long 0xD1000047, 0x01728D0E
.long 0xE050D000, 0x80187047
.long 0xBF8C0F7E
.long 0x022AF115
.long 0x81858105
.long 0xBF05CE05
.long 0xBF850186
	;; [unrolled: 10-line block ×15, first 2 shown]
.long 0x022AE115
.long 0xBF8C0F7B
	;; [unrolled: 1-line block ×221, first 2 shown]
.long 0x7E8C02FF, 0x80000000
.long 0xBEE00016
.long 0xBEE10017
	;; [unrolled: 1-line block ×4, first 2 shown]
.long 0xE050D000, 0x80181D16
.long 0xBE850032
.long 0x81858105
	;; [unrolled: 1-line block ×6, first 2 shown]
.long 0xE050D000, 0x80186816
.long 0x81858105
.long 0x80605A60
.long 0x82615B61
.long 0xBF008005
.long 0xBF8501FF
.long 0xE050D000, 0x80187016
.long 0x81858105
.long 0x80605A60
.long 0x82615B61
.long 0xBF008005
.long 0xBF8501F3
	;; [unrolled: 6-line block ×15, first 2 shown]
.long 0x80605A60
.long 0x82615B61
.long 0xD0C6005C, 0x00000A80
.long 0xD1000047, 0x01728D16
.long 0xE050D000, 0x80186847
.long 0xBF8C0F7E
.long 0x023AE11D
.long 0x81858105
.long 0xBF05CE05
.long 0xBF850193
.long 0x80605A60
.long 0x82615B61
.long 0xD0C6005C, 0x00000A80
.long 0xD1000047, 0x01728D16
.long 0xE050D000, 0x80187047
.long 0xBF8C0F7E
.long 0x023AF11D
.long 0x81858105
.long 0xBF05CE05
.long 0xBF850186
	;; [unrolled: 10-line block ×15, first 2 shown]
.long 0x023AE11D
.long 0xBF8C0F7B
	;; [unrolled: 1-line block ×221, first 2 shown]
.long 0x7E8C02FF, 0x80000000
.long 0xBEE00016
.long 0xBEE10017
	;; [unrolled: 1-line block ×4, first 2 shown]
.long 0xE050D000, 0x8018251E
.long 0xBE850032
.long 0x81858105
	;; [unrolled: 1-line block ×6, first 2 shown]
.long 0xE050D000, 0x8018681E
.long 0x81858105
.long 0x80605A60
.long 0x82615B61
.long 0xBF008005
.long 0xBF8501FF
.long 0xE050D000, 0x8018701E
.long 0x81858105
.long 0x80605A60
.long 0x82615B61
.long 0xBF008005
.long 0xBF8501F3
	;; [unrolled: 6-line block ×15, first 2 shown]
.long 0x80605A60
.long 0x82615B61
.long 0xD0C6005C, 0x00000A80
.long 0xD1000047, 0x01728D1E
.long 0xE050D000, 0x80186847
.long 0xBF8C0F7E
.long 0x024AE125
.long 0x81858105
.long 0xBF05CE05
.long 0xBF850193
.long 0x80605A60
.long 0x82615B61
.long 0xD0C6005C, 0x00000A80
.long 0xD1000047, 0x01728D1E
.long 0xE050D000, 0x80187047
.long 0xBF8C0F7E
.long 0x024AF125
.long 0x81858105
.long 0xBF05CE05
.long 0xBF850186
	;; [unrolled: 10-line block ×15, first 2 shown]
.long 0x024AE125
.long 0xBF8C0F7B
	;; [unrolled: 1-line block ×221, first 2 shown]
.long 0x7E8C02FF, 0x80000000
.long 0xBEE00016
.long 0xBEE10017
.long 0xBEE2000E
.long 0xBEE3000F
.long 0xE050D000, 0x80182D26
.long 0xBE850032
.long 0x81858105
.long 0x80605A60
.long 0x82615B61
.long 0xBF008005
.long 0xBF850209
.long 0xE050D000, 0x80186826
.long 0x81858105
.long 0x80605A60
.long 0x82615B61
.long 0xBF008005
.long 0xBF8501FF
.long 0xE050D000, 0x80187026
.long 0x81858105
.long 0x80605A60
.long 0x82615B61
.long 0xBF008005
.long 0xBF8501F3
.long 0xE050D000, 0x80187826
.long 0x81858105
.long 0x80605A60
.long 0x82615B61
.long 0xBF008005
.long 0xBF8501E5
.long 0xE050D000, 0x80188026
.long 0x81858105
.long 0x80605A60
.long 0x82615B61
.long 0xBF008005
.long 0xBF8501D5
.long 0xE050D000, 0x80188826
.long 0x81858105
.long 0x80605A60
.long 0x82615B61
.long 0xBF008005
.long 0xBF8501C3
.long 0xE050D000, 0x80189026
.long 0x81858105
.long 0x80605A60
.long 0x82615B61
.long 0xBF008005
.long 0xBF8501AF
.long 0xE050D000, 0x80189826
.long 0x81858105
.long 0x80605A60
.long 0x82615B61
.long 0xBF008005
.long 0xBF850199
.long 0xE050D000, 0x8018A026
.long 0x81858105
.long 0x80605A60
.long 0x82615B61
.long 0xBF008005
.long 0xBF850181
.long 0xE050D000, 0x8018A826
.long 0x81858105
.long 0x80605A60
.long 0x82615B61
.long 0xBF008005
.long 0xBF850167
.long 0xE050D000, 0x8018B026
.long 0x81858105
.long 0x80605A60
.long 0x82615B61
.long 0xBF008005
.long 0xBF85014B
.long 0xE050D000, 0x8018B826
.long 0x81858105
.long 0x80605A60
.long 0x82615B61
.long 0xBF008005
.long 0xBF85012D
.long 0xE050D000, 0x8018C026
.long 0x81858105
.long 0x80605A60
.long 0x82615B61
.long 0xBF008005
.long 0xBF85010D
.long 0xE050D000, 0x8018C826
.long 0x81858105
.long 0x80605A60
.long 0x82615B61
.long 0xBF008005
.long 0xBF8500EB
.long 0xE050D000, 0x8018D026
.long 0x81858105
.long 0x80605A60
.long 0x82615B61
.long 0xBF008005
.long 0xBF8500C7
.long 0xE050D000, 0x8018D826
.long 0xBF8C0F7E
.long 0x025AD12D
.long 0x81858105
.long 0xBF05CE05
.long 0xBF8501A0
.long 0x80605A60
.long 0x82615B61
.long 0xD0C6005C, 0x00000A80
.long 0xD1000047, 0x01728D26
.long 0xE050D000, 0x80186847
.long 0xBF8C0F7E
.long 0x025AE12D
.long 0x81858105
.long 0xBF05CE05
.long 0xBF850193
.long 0x80605A60
.long 0x82615B61
.long 0xD0C6005C, 0x00000A80
.long 0xD1000047, 0x01728D26
.long 0xE050D000, 0x80187047
.long 0xBF8C0F7E
.long 0x025AF12D
.long 0x81858105
.long 0xBF05CE05
.long 0xBF850186
	;; [unrolled: 10-line block ×15, first 2 shown]
.long 0x025AE12D
.long 0xBF8C0F7B
	;; [unrolled: 1-line block ×221, first 2 shown]
.long 0x7E8C02FF, 0x80000000
.long 0xBEE00016
.long 0xBEE10017
	;; [unrolled: 1-line block ×4, first 2 shown]
.long 0xE050D000, 0x8018352E
.long 0xBE850032
.long 0x81858105
	;; [unrolled: 1-line block ×6, first 2 shown]
.long 0xE050D000, 0x8018682E
.long 0x81858105
.long 0x80605A60
.long 0x82615B61
.long 0xBF008005
.long 0xBF8501FF
.long 0xE050D000, 0x8018702E
.long 0x81858105
.long 0x80605A60
.long 0x82615B61
.long 0xBF008005
.long 0xBF8501F3
	;; [unrolled: 6-line block ×15, first 2 shown]
.long 0x80605A60
.long 0x82615B61
.long 0xD0C6005C, 0x00000A80
.long 0xD1000047, 0x01728D2E
.long 0xE050D000, 0x80186847
.long 0xBF8C0F7E
.long 0x026AE135
.long 0x81858105
.long 0xBF05CE05
.long 0xBF850193
.long 0x80605A60
.long 0x82615B61
.long 0xD0C6005C, 0x00000A80
.long 0xD1000047, 0x01728D2E
.long 0xE050D000, 0x80187047
.long 0xBF8C0F7E
.long 0x026AF135
.long 0x81858105
.long 0xBF05CE05
.long 0xBF850186
	;; [unrolled: 10-line block ×15, first 2 shown]
.long 0x026AE135
.long 0xBF8C0F7B
	;; [unrolled: 1-line block ×221, first 2 shown]
.long 0x7E8C02FF, 0x80000000
.long 0xBEE00016
.long 0xBEE10017
.long 0xBEE2000E
.long 0xBEE3000F
.long 0xE050D000, 0x80183D36
.long 0xBE850032
.long 0x81858105
	;; [unrolled: 1-line block ×6, first 2 shown]
.long 0xE050D000, 0x80186836
.long 0x81858105
.long 0x80605A60
.long 0x82615B61
.long 0xBF008005
.long 0xBF8501FF
.long 0xE050D000, 0x80187036
.long 0x81858105
.long 0x80605A60
.long 0x82615B61
.long 0xBF008005
.long 0xBF8501F3
	;; [unrolled: 6-line block ×15, first 2 shown]
.long 0x80605A60
.long 0x82615B61
.long 0xD0C6005C, 0x00000A80
.long 0xD1000047, 0x01728D36
.long 0xE050D000, 0x80186847
.long 0xBF8C0F7E
.long 0x027AE13D
.long 0x81858105
.long 0xBF05CE05
.long 0xBF850193
.long 0x80605A60
.long 0x82615B61
.long 0xD0C6005C, 0x00000A80
.long 0xD1000047, 0x01728D36
.long 0xE050D000, 0x80187047
.long 0xBF8C0F7E
.long 0x027AF13D
.long 0x81858105
.long 0xBF05CE05
.long 0xBF850186
	;; [unrolled: 10-line block ×15, first 2 shown]
.long 0x027AE13D
.long 0xBF8C0F7B
	;; [unrolled: 1-line block ×221, first 2 shown]
.long 0x7E8C02FF, 0x80000000
.long 0xBEE00016
.long 0xBEE10017
	;; [unrolled: 1-line block ×4, first 2 shown]
.long 0xE050D000, 0x8018453E
.long 0xBE850032
.long 0x81858105
	;; [unrolled: 1-line block ×6, first 2 shown]
.long 0xE050D000, 0x8018683E
.long 0x81858105
.long 0x80605A60
.long 0x82615B61
.long 0xBF008005
.long 0xBF8501FF
.long 0xE050D000, 0x8018703E
.long 0x81858105
.long 0x80605A60
.long 0x82615B61
.long 0xBF008005
.long 0xBF8501F3
	;; [unrolled: 6-line block ×15, first 2 shown]
.long 0x80605A60
.long 0x82615B61
.long 0xD0C6005C, 0x00000A80
.long 0xD1000047, 0x01728D3E
.long 0xE050D000, 0x80186847
.long 0xBF8C0F7E
.long 0x028AE145
.long 0x81858105
.long 0xBF05CE05
.long 0xBF850193
.long 0x80605A60
.long 0x82615B61
.long 0xD0C6005C, 0x00000A80
.long 0xD1000047, 0x01728D3E
.long 0xE050D000, 0x80187047
.long 0xBF8C0F7E
.long 0x028AF145
.long 0x81858105
.long 0xBF05CE05
.long 0xBF850186
	;; [unrolled: 10-line block ×15, first 2 shown]
.long 0x028AE145
.long 0xBF8C0F7B
	;; [unrolled: 1-line block ×230, first 2 shown]
.long 0xD0CC0038, 0x0001004A
.long 0xD100000C, 0x00E218F2
.long 0x0A1A1B0C
.long 0xD3A0000D, 0x14361431
.long 0x021A1B0B
.long 0xD10B000D, 0x0001010D
.long 0x7E1A150D
.long 0xE068D000, 0x80140D07
.long 0xBF800000
.long 0xD0CC0038, 0x0001004A
.long 0xD1000014, 0x00E228F2
.long 0x0A2A2B14
.long 0xD3A01015, 0x14562431
.long 0x022A2B13
.long 0xD10B0015, 0x00010115
.long 0x7E2A1515
.long 0xE068D000, 0x8014150F
.long 0xBF800000
	;; [unrolled: 9-line block ×8, first 2 shown]
.long 0xBF800000
.long 0xBED41C00
.long 0x815684FF, 0x0000E1C4
.long 0x80545654
.long 0x82558055
	;; [unrolled: 1-line block ×3, first 2 shown]
.long 0x7E8C02FF, 0x80000000
.long 0xD0C90054, 0x00003900
	;; [unrolled: 1-line block ×3, first 2 shown]
.long 0x86D85854
.long 0xD1FE0006, 0x02060102
.long 0xD1000006, 0x01620D46
	;; [unrolled: 1-line block ×5, first 2 shown]
.long 0x24101082
.long 0xD1000008, 0x01621146
.long 0xBF8CC07F
.long 0xBF8A0000
.long 0xD86C0000, 0x0B000008
.long 0x24120082
.long 0xE0501000, 0x80120C09
.long 0xD1FE0006, 0x020A0103
.long 0xD1000006, 0x01620D46
.long 0xD1FE0007, 0x02060103
.long 0xD1000007, 0x01620F46
.long 0xD1196A04, 0x00010300
.long 0xD0C90054, 0x00003904
.long 0xD0C90058, 0x00003B01
.long 0x86D85854
.long 0xD1FE000E, 0x02060902
.long 0xD100000E, 0x01621D46
.long 0xE0941000, 0x8004120E
.long 0x925402FF, 0x00000080
.long 0xD1350010, 0x0000A904
.long 0x24202082
.long 0xD1000010, 0x01622146
.long 0xD86C0000, 0x13000010
.long 0x24220882
.long 0xE0501000, 0x80121411
.long 0xD1FE000E, 0x020A0903
.long 0xD100000E, 0x01621D46
.long 0xD1FE000F, 0x02060903
.long 0xD100000F, 0x01621F46
.long 0xD1196A04, 0x00010500
.long 0xD0C90054, 0x00003904
.long 0xD0C90058, 0x00003B01
.long 0x86D85854
.long 0xD1FE0016, 0x02060902
.long 0xD1000016, 0x01622D46
.long 0xE0901000, 0x80041A16
.long 0x925402FF, 0x00000080
.long 0xD1350018, 0x0000A904
.long 0x24303082
.long 0xD1000018, 0x01623146
	;; [unrolled: 18-line block ×7, first 2 shown]
.long 0xD86C0000, 0x43000040
.long 0x24820882
.long 0xE0501000, 0x80124441
.long 0xD1FE003E, 0x020A0903
	;; [unrolled: 1-line block ×13, first 2 shown]
.long 0xBF800001
.long 0xE070D000, 0x80030D06
.long 0xE070D000, 0x8003150E
	;; [unrolled: 1-line block ×8, first 2 shown]
.long 0xBF800000
.long 0x92421415
	;; [unrolled: 1-line block ×16, first 2 shown]
.long 0xC2330CCC, 0x00000000
.long 0x965F811C
.long 0x925E811C
	;; [unrolled: 1-line block ×15, first 2 shown]
.long 0x7E8C02FF, 0x80000000
.long 0xBEE00016
.long 0xBEE10017
.long 0xBEE2000E
.long 0xBEE3000F
.long 0xBF8CC07F
.long 0xBF068133
.long 0xBF841153
.long 0xE050D000, 0x80180D06
.long 0xBE850032
.long 0x81858105
	;; [unrolled: 1-line block ×6, first 2 shown]
.long 0xE050D000, 0x80186806
.long 0x81858105
.long 0x80605A60
.long 0x82615B61
.long 0xBF008005
.long 0xBF8501FF
.long 0xE050D000, 0x80187006
.long 0x81858105
.long 0x80605A60
.long 0x82615B61
.long 0xBF008005
.long 0xBF8501F3
	;; [unrolled: 6-line block ×15, first 2 shown]
.long 0x80605A60
.long 0x82615B61
.long 0xD0C6005C, 0x00000A80
.long 0xD1000047, 0x01728D06
.long 0xE050D000, 0x80186847
.long 0xBF8C0F7E
.long 0x021AE10D
.long 0x81858105
.long 0xBF05CE05
.long 0xBF850193
.long 0x80605A60
.long 0x82615B61
.long 0xD0C6005C, 0x00000A80
.long 0xD1000047, 0x01728D06
.long 0xE050D000, 0x80187047
.long 0xBF8C0F7E
.long 0x021AF10D
.long 0x81858105
.long 0xBF05CE05
.long 0xBF850186
	;; [unrolled: 10-line block ×15, first 2 shown]
.long 0x021AE10D
.long 0xBF8C0F7B
	;; [unrolled: 1-line block ×221, first 2 shown]
.long 0x7E8C02FF, 0x80000000
.long 0xBEE00016
.long 0xBEE10017
	;; [unrolled: 1-line block ×4, first 2 shown]
.long 0xE050D000, 0x8018150E
.long 0xBE850032
.long 0x81858105
	;; [unrolled: 1-line block ×6, first 2 shown]
.long 0xE050D000, 0x8018680E
.long 0x81858105
.long 0x80605A60
.long 0x82615B61
.long 0xBF008005
.long 0xBF8501FF
.long 0xE050D000, 0x8018700E
.long 0x81858105
.long 0x80605A60
.long 0x82615B61
.long 0xBF008005
.long 0xBF8501F3
	;; [unrolled: 6-line block ×15, first 2 shown]
.long 0x80605A60
.long 0x82615B61
.long 0xD0C6005C, 0x00000A80
.long 0xD1000047, 0x01728D0E
.long 0xE050D000, 0x80186847
.long 0xBF8C0F7E
.long 0x022AE115
.long 0x81858105
.long 0xBF05CE05
.long 0xBF850193
.long 0x80605A60
.long 0x82615B61
.long 0xD0C6005C, 0x00000A80
.long 0xD1000047, 0x01728D0E
.long 0xE050D000, 0x80187047
.long 0xBF8C0F7E
.long 0x022AF115
.long 0x81858105
.long 0xBF05CE05
.long 0xBF850186
	;; [unrolled: 10-line block ×15, first 2 shown]
.long 0x022AE115
.long 0xBF8C0F7B
	;; [unrolled: 1-line block ×221, first 2 shown]
.long 0x7E8C02FF, 0x80000000
.long 0xBEE00016
.long 0xBEE10017
	;; [unrolled: 1-line block ×4, first 2 shown]
.long 0xE050D000, 0x80181D16
.long 0xBE850032
.long 0x81858105
	;; [unrolled: 1-line block ×6, first 2 shown]
.long 0xE050D000, 0x80186816
.long 0x81858105
.long 0x80605A60
.long 0x82615B61
.long 0xBF008005
.long 0xBF8501FF
.long 0xE050D000, 0x80187016
.long 0x81858105
.long 0x80605A60
.long 0x82615B61
.long 0xBF008005
.long 0xBF8501F3
	;; [unrolled: 6-line block ×15, first 2 shown]
.long 0x80605A60
.long 0x82615B61
.long 0xD0C6005C, 0x00000A80
.long 0xD1000047, 0x01728D16
.long 0xE050D000, 0x80186847
.long 0xBF8C0F7E
.long 0x023AE11D
.long 0x81858105
.long 0xBF05CE05
.long 0xBF850193
.long 0x80605A60
.long 0x82615B61
.long 0xD0C6005C, 0x00000A80
.long 0xD1000047, 0x01728D16
.long 0xE050D000, 0x80187047
.long 0xBF8C0F7E
.long 0x023AF11D
.long 0x81858105
.long 0xBF05CE05
.long 0xBF850186
	;; [unrolled: 10-line block ×15, first 2 shown]
.long 0x023AE11D
.long 0xBF8C0F7B
	;; [unrolled: 1-line block ×221, first 2 shown]
.long 0x7E8C02FF, 0x80000000
.long 0xBEE00016
.long 0xBEE10017
	;; [unrolled: 1-line block ×4, first 2 shown]
.long 0xE050D000, 0x8018251E
.long 0xBE850032
.long 0x81858105
	;; [unrolled: 1-line block ×6, first 2 shown]
.long 0xE050D000, 0x8018681E
.long 0x81858105
.long 0x80605A60
.long 0x82615B61
.long 0xBF008005
.long 0xBF8501FF
.long 0xE050D000, 0x8018701E
.long 0x81858105
.long 0x80605A60
.long 0x82615B61
.long 0xBF008005
.long 0xBF8501F3
	;; [unrolled: 6-line block ×15, first 2 shown]
.long 0x80605A60
.long 0x82615B61
.long 0xD0C6005C, 0x00000A80
.long 0xD1000047, 0x01728D1E
.long 0xE050D000, 0x80186847
.long 0xBF8C0F7E
.long 0x024AE125
.long 0x81858105
.long 0xBF05CE05
.long 0xBF850193
.long 0x80605A60
.long 0x82615B61
.long 0xD0C6005C, 0x00000A80
.long 0xD1000047, 0x01728D1E
.long 0xE050D000, 0x80187047
.long 0xBF8C0F7E
.long 0x024AF125
.long 0x81858105
.long 0xBF05CE05
.long 0xBF850186
	;; [unrolled: 10-line block ×15, first 2 shown]
.long 0x024AE125
.long 0xBF8C0F7B
	;; [unrolled: 1-line block ×221, first 2 shown]
.long 0x7E8C02FF, 0x80000000
.long 0xBEE00016
.long 0xBEE10017
	;; [unrolled: 1-line block ×4, first 2 shown]
.long 0xE050D000, 0x80182D26
.long 0xBE850032
.long 0x81858105
	;; [unrolled: 1-line block ×6, first 2 shown]
.long 0xE050D000, 0x80186826
.long 0x81858105
.long 0x80605A60
.long 0x82615B61
.long 0xBF008005
.long 0xBF8501FF
.long 0xE050D000, 0x80187026
.long 0x81858105
.long 0x80605A60
.long 0x82615B61
.long 0xBF008005
.long 0xBF8501F3
	;; [unrolled: 6-line block ×15, first 2 shown]
.long 0x80605A60
.long 0x82615B61
.long 0xD0C6005C, 0x00000A80
.long 0xD1000047, 0x01728D26
.long 0xE050D000, 0x80186847
.long 0xBF8C0F7E
.long 0x025AE12D
.long 0x81858105
.long 0xBF05CE05
.long 0xBF850193
.long 0x80605A60
.long 0x82615B61
.long 0xD0C6005C, 0x00000A80
.long 0xD1000047, 0x01728D26
.long 0xE050D000, 0x80187047
.long 0xBF8C0F7E
.long 0x025AF12D
.long 0x81858105
.long 0xBF05CE05
.long 0xBF850186
	;; [unrolled: 10-line block ×15, first 2 shown]
.long 0x025AE12D
.long 0xBF8C0F7B
	;; [unrolled: 1-line block ×221, first 2 shown]
.long 0x7E8C02FF, 0x80000000
.long 0xBEE00016
.long 0xBEE10017
	;; [unrolled: 1-line block ×4, first 2 shown]
.long 0xE050D000, 0x8018352E
.long 0xBE850032
.long 0x81858105
	;; [unrolled: 1-line block ×6, first 2 shown]
.long 0xE050D000, 0x8018682E
.long 0x81858105
.long 0x80605A60
.long 0x82615B61
.long 0xBF008005
.long 0xBF8501FF
.long 0xE050D000, 0x8018702E
.long 0x81858105
.long 0x80605A60
.long 0x82615B61
.long 0xBF008005
.long 0xBF8501F3
	;; [unrolled: 6-line block ×15, first 2 shown]
.long 0x80605A60
.long 0x82615B61
.long 0xD0C6005C, 0x00000A80
.long 0xD1000047, 0x01728D2E
.long 0xE050D000, 0x80186847
.long 0xBF8C0F7E
.long 0x026AE135
.long 0x81858105
.long 0xBF05CE05
.long 0xBF850193
.long 0x80605A60
.long 0x82615B61
.long 0xD0C6005C, 0x00000A80
.long 0xD1000047, 0x01728D2E
.long 0xE050D000, 0x80187047
.long 0xBF8C0F7E
.long 0x026AF135
.long 0x81858105
.long 0xBF05CE05
.long 0xBF850186
	;; [unrolled: 10-line block ×15, first 2 shown]
.long 0x026AE135
.long 0xBF8C0F7B
	;; [unrolled: 1-line block ×221, first 2 shown]
.long 0x7E8C02FF, 0x80000000
.long 0xBEE00016
.long 0xBEE10017
.long 0xBEE2000E
.long 0xBEE3000F
.long 0xE050D000, 0x80183D36
.long 0xBE850032
.long 0x81858105
	;; [unrolled: 1-line block ×6, first 2 shown]
.long 0xE050D000, 0x80186836
.long 0x81858105
.long 0x80605A60
.long 0x82615B61
.long 0xBF008005
.long 0xBF8501FF
.long 0xE050D000, 0x80187036
.long 0x81858105
.long 0x80605A60
.long 0x82615B61
.long 0xBF008005
.long 0xBF8501F3
	;; [unrolled: 6-line block ×15, first 2 shown]
.long 0x80605A60
.long 0x82615B61
.long 0xD0C6005C, 0x00000A80
.long 0xD1000047, 0x01728D36
.long 0xE050D000, 0x80186847
.long 0xBF8C0F7E
.long 0x027AE13D
.long 0x81858105
.long 0xBF05CE05
.long 0xBF850193
.long 0x80605A60
.long 0x82615B61
.long 0xD0C6005C, 0x00000A80
.long 0xD1000047, 0x01728D36
.long 0xE050D000, 0x80187047
.long 0xBF8C0F7E
.long 0x027AF13D
.long 0x81858105
.long 0xBF05CE05
.long 0xBF850186
	;; [unrolled: 10-line block ×15, first 2 shown]
.long 0x027AE13D
.long 0xBF8C0F7B
	;; [unrolled: 1-line block ×221, first 2 shown]
.long 0x7E8C02FF, 0x80000000
.long 0xBEE00016
.long 0xBEE10017
	;; [unrolled: 1-line block ×4, first 2 shown]
.long 0xE050D000, 0x8018453E
.long 0xBE850032
.long 0x81858105
	;; [unrolled: 1-line block ×6, first 2 shown]
.long 0xE050D000, 0x8018683E
.long 0x81858105
.long 0x80605A60
.long 0x82615B61
.long 0xBF008005
.long 0xBF8501FF
.long 0xE050D000, 0x8018703E
.long 0x81858105
.long 0x80605A60
.long 0x82615B61
.long 0xBF008005
.long 0xBF8501F3
	;; [unrolled: 6-line block ×15, first 2 shown]
.long 0x80605A60
.long 0x82615B61
.long 0xD0C6005C, 0x00000A80
.long 0xD1000047, 0x01728D3E
.long 0xE050D000, 0x80186847
.long 0xBF8C0F7E
.long 0x028AE145
.long 0x81858105
.long 0xBF05CE05
.long 0xBF850193
.long 0x80605A60
.long 0x82615B61
.long 0xD0C6005C, 0x00000A80
.long 0xD1000047, 0x01728D3E
.long 0xE050D000, 0x80187047
.long 0xBF8C0F7E
.long 0x028AF145
.long 0x81858105
.long 0xBF05CE05
.long 0xBF850186
	;; [unrolled: 10-line block ×15, first 2 shown]
.long 0x028AE145
.long 0xBF8C0F7B
	;; [unrolled: 1-line block ×230, first 2 shown]
.long 0xD0CC0038, 0x0001004A
.long 0xD100000C, 0x00E218F2
.long 0x0A1A1B0C
.long 0xD3A0000D, 0x14361431
.long 0x021A1B0B
.long 0x0A1A1AFF, 0xBFB8AA3B
.long 0x7E1A410D
.long 0xBF800000
.long 0x021A1AF2
.long 0x7E1A450D
.long 0xBF800000
.long 0x7E1A150D
.long 0xE068D000, 0x80140D07
.long 0xBF800000
.long 0xD0CC0038, 0x0001004A
.long 0xD1000014, 0x00E228F2
.long 0x0A2A2B14
.long 0xD3A01015, 0x14562431
.long 0x022A2B13
.long 0x0A2A2AFF, 0xBFB8AA3B
.long 0x7E2A4115
.long 0xBF800000
.long 0x022A2AF2
.long 0x7E2A4515
.long 0xBF800000
.long 0x7E2A1515
.long 0xE068D000, 0x8014150F
.long 0xBF800000
	;; [unrolled: 14-line block ×8, first 2 shown]
.long 0xBF800000
.long 0xBF8225C3
.long 0x7E8C02FF, 0x80000000
.long 0xD0C90054, 0x00003900
.long 0xD0C90058, 0x00003B01
.long 0x86D85854
.long 0xD1FE0006, 0x02060102
.long 0xD1000006, 0x01620D46
	;; [unrolled: 1-line block ×5, first 2 shown]
.long 0x24101082
.long 0xD1000008, 0x01621146
.long 0xBF8CC07F
.long 0xBF8A0000
.long 0xD86C0000, 0x0B000008
.long 0x24120082
.long 0xE0501000, 0x80120C09
.long 0xD1FE0006, 0x020A0103
.long 0xD1000006, 0x01620D46
.long 0xD1FE0007, 0x02060103
.long 0xD1000007, 0x01620F46
.long 0xD1196A04, 0x00010300
.long 0xD0C90054, 0x00003904
.long 0xD0C90058, 0x00003B01
.long 0x86D85854
.long 0xD1FE000E, 0x02060902
.long 0xD100000E, 0x01621D46
.long 0xE0941000, 0x8004120E
.long 0x925402FF, 0x00000080
.long 0xD1350010, 0x0000A904
.long 0x24202082
.long 0xD1000010, 0x01622146
.long 0xD86C0000, 0x13000010
.long 0x24220882
.long 0xE0501000, 0x80121411
.long 0xD1FE000E, 0x020A0903
.long 0xD100000E, 0x01621D46
.long 0xD1FE000F, 0x02060903
.long 0xD100000F, 0x01621F46
.long 0xD1196A04, 0x00010500
.long 0xD0C90054, 0x00003904
.long 0xD0C90058, 0x00003B01
.long 0x86D85854
.long 0xD1FE0016, 0x02060902
.long 0xD1000016, 0x01622D46
.long 0xE0901000, 0x80041A16
.long 0x925402FF, 0x00000080
.long 0xD1350018, 0x0000A904
.long 0x24303082
.long 0xD1000018, 0x01623146
.long 0xD86C0000, 0x1B000018
.long 0x24320882
.long 0xE0501000, 0x80121C19
.long 0xD1FE0016, 0x020A0903
.long 0xD1000016, 0x01622D46
.long 0xD1FE0017, 0x02060903
.long 0xD1000017, 0x01622F46
.long 0xD1196A04, 0x00010700
.long 0xD0C90054, 0x00003904
.long 0xD0C90058, 0x00003B01
.long 0x86D85854
.long 0xD1FE001E, 0x02060902
.long 0xD100001E, 0x01623D46
.long 0xE0941000, 0x8004221E
.long 0x925402FF, 0x00000080
.long 0xD1350020, 0x0000A904
.long 0x24404082
.long 0xD1000020, 0x01624146
.long 0xD86C0000, 0x23000020
.long 0x24420882
.long 0xE0501000, 0x80122421
.long 0xD1FE001E, 0x020A0903
.long 0xD100001E, 0x01623D46
.long 0xD1FE001F, 0x02060903
.long 0xD100001F, 0x01623F46
.long 0xD1196A04, 0x00010900
.long 0xD0C90054, 0x00003904
.long 0xD0C90058, 0x00003B01
.long 0x86D85854
.long 0xD1FE0026, 0x02060902
.long 0xD1000026, 0x01624D46
.long 0xE0901000, 0x80042A26
.long 0x925402FF, 0x00000080
.long 0xD1350028, 0x0000A904
.long 0x24505082
.long 0xD1000028, 0x01625146
.long 0xD86C0000, 0x2B000028
.long 0x24520882
.long 0xE0501000, 0x80122C29
.long 0xD1FE0026, 0x020A0903
.long 0xD1000026, 0x01624D46
.long 0xD1FE0027, 0x02060903
.long 0xD1000027, 0x01624F46
.long 0xD1196A04, 0x00010B00
.long 0xD0C90054, 0x00003904
.long 0xD0C90058, 0x00003B01
.long 0x86D85854
.long 0xD1FE002E, 0x02060902
.long 0xD100002E, 0x01625D46
.long 0xE0941000, 0x8004322E
.long 0x925402FF, 0x00000080
.long 0xD1350030, 0x0000A904
.long 0x24606082
.long 0xD1000030, 0x01626146
.long 0xD86C0000, 0x33000030
.long 0x24620882
.long 0xE0501000, 0x80123431
.long 0xD1FE002E, 0x020A0903
.long 0xD100002E, 0x01625D46
.long 0xD1FE002F, 0x02060903
.long 0xD100002F, 0x01625F46
.long 0xD1196A04, 0x00010D00
.long 0xD0C90054, 0x00003904
.long 0xD0C90058, 0x00003B01
.long 0x86D85854
.long 0xD1FE0036, 0x02060902
.long 0xD1000036, 0x01626D46
.long 0xE0901000, 0x80043A36
.long 0x925402FF, 0x00000080
.long 0xD1350038, 0x0000A904
.long 0x24707082
.long 0xD1000038, 0x01627146
.long 0xD86C0000, 0x3B000038
.long 0x24720882
.long 0xE0501000, 0x80123C39
.long 0xD1FE0036, 0x020A0903
.long 0xD1000036, 0x01626D46
.long 0xD1FE0037, 0x02060903
.long 0xD1000037, 0x01626F46
.long 0xD1196A04, 0x00010F00
.long 0xD0C90054, 0x00003904
.long 0xD0C90058, 0x00003B01
.long 0x86D85854
.long 0xD1FE003E, 0x02060902
.long 0xD100003E, 0x01627D46
.long 0xE0941000, 0x8004423E
.long 0x925402FF, 0x00000080
.long 0xD1350040, 0x0000A904
.long 0x24808082
.long 0xD1000040, 0x01628146
.long 0xD86C0000, 0x43000040
.long 0x24820882
.long 0xE0501000, 0x80124441
.long 0xD1FE003E, 0x020A0903
	;; [unrolled: 1-line block ×13, first 2 shown]
.long 0xBF800001
.long 0xE070D000, 0x80030D06
.long 0xE070D000, 0x8003150E
	;; [unrolled: 1-line block ×8, first 2 shown]
.long 0xBF800000
.long 0x92421415
	;; [unrolled: 1-line block ×16, first 2 shown]
.long 0xC2330CCC, 0x00000000
.long 0x965F811C
.long 0x925E811C
	;; [unrolled: 1-line block ×15, first 2 shown]
.long 0x7E8C02FF, 0x80000000
.long 0xBEE00016
.long 0xBEE10017
	;; [unrolled: 1-line block ×7, first 2 shown]
.long 0xE050D000, 0x80180D06
.long 0xBE850032
.long 0x81858105
.long 0x80605A60
.long 0x82615B61
.long 0xBF008005
.long 0xBF850209
.long 0xE050D000, 0x80186806
.long 0x81858105
.long 0x80605A60
.long 0x82615B61
.long 0xBF008005
.long 0xBF8501FF
.long 0xE050D000, 0x80187006
.long 0x81858105
.long 0x80605A60
.long 0x82615B61
.long 0xBF008005
.long 0xBF8501F3
	;; [unrolled: 6-line block ×15, first 2 shown]
.long 0x80605A60
.long 0x82615B61
.long 0xD0C6005C, 0x00000A80
.long 0xD1000047, 0x01728D06
.long 0xE050D000, 0x80186847
.long 0xBF8C0F7E
.long 0x021AE10D
.long 0x81858105
.long 0xBF05CE05
.long 0xBF850193
.long 0x80605A60
.long 0x82615B61
.long 0xD0C6005C, 0x00000A80
.long 0xD1000047, 0x01728D06
.long 0xE050D000, 0x80187047
.long 0xBF8C0F7E
.long 0x021AF10D
.long 0x81858105
.long 0xBF05CE05
.long 0xBF850186
	;; [unrolled: 10-line block ×15, first 2 shown]
.long 0x021AE10D
.long 0xBF8C0F7B
	;; [unrolled: 1-line block ×221, first 2 shown]
.long 0x7E8C02FF, 0x80000000
.long 0xBEE00016
.long 0xBEE10017
	;; [unrolled: 1-line block ×4, first 2 shown]
.long 0xE050D000, 0x8018150E
.long 0xBE850032
.long 0x81858105
	;; [unrolled: 1-line block ×6, first 2 shown]
.long 0xE050D000, 0x8018680E
.long 0x81858105
.long 0x80605A60
.long 0x82615B61
.long 0xBF008005
.long 0xBF8501FF
.long 0xE050D000, 0x8018700E
.long 0x81858105
.long 0x80605A60
.long 0x82615B61
.long 0xBF008005
.long 0xBF8501F3
.long 0xE050D000, 0x8018780E
.long 0x81858105
.long 0x80605A60
.long 0x82615B61
.long 0xBF008005
.long 0xBF8501E5
.long 0xE050D000, 0x8018800E
.long 0x81858105
.long 0x80605A60
.long 0x82615B61
.long 0xBF008005
.long 0xBF8501D5
.long 0xE050D000, 0x8018880E
.long 0x81858105
.long 0x80605A60
.long 0x82615B61
.long 0xBF008005
.long 0xBF8501C3
.long 0xE050D000, 0x8018900E
.long 0x81858105
.long 0x80605A60
.long 0x82615B61
.long 0xBF008005
.long 0xBF8501AF
.long 0xE050D000, 0x8018980E
.long 0x81858105
.long 0x80605A60
.long 0x82615B61
.long 0xBF008005
.long 0xBF850199
.long 0xE050D000, 0x8018A00E
.long 0x81858105
.long 0x80605A60
.long 0x82615B61
.long 0xBF008005
.long 0xBF850181
.long 0xE050D000, 0x8018A80E
.long 0x81858105
.long 0x80605A60
.long 0x82615B61
.long 0xBF008005
.long 0xBF850167
.long 0xE050D000, 0x8018B00E
.long 0x81858105
.long 0x80605A60
.long 0x82615B61
.long 0xBF008005
.long 0xBF85014B
.long 0xE050D000, 0x8018B80E
.long 0x81858105
.long 0x80605A60
.long 0x82615B61
.long 0xBF008005
.long 0xBF85012D
.long 0xE050D000, 0x8018C00E
.long 0x81858105
.long 0x80605A60
.long 0x82615B61
.long 0xBF008005
.long 0xBF85010D
.long 0xE050D000, 0x8018C80E
.long 0x81858105
.long 0x80605A60
.long 0x82615B61
.long 0xBF008005
.long 0xBF8500EB
.long 0xE050D000, 0x8018D00E
.long 0x81858105
.long 0x80605A60
.long 0x82615B61
.long 0xBF008005
.long 0xBF8500C7
.long 0xE050D000, 0x8018D80E
.long 0xBF8C0F7E
.long 0x022AD115
.long 0x81858105
.long 0xBF05CE05
.long 0xBF8501A0
.long 0x80605A60
.long 0x82615B61
.long 0xD0C6005C, 0x00000A80
.long 0xD1000047, 0x01728D0E
.long 0xE050D000, 0x80186847
.long 0xBF8C0F7E
.long 0x022AE115
.long 0x81858105
.long 0xBF05CE05
.long 0xBF850193
.long 0x80605A60
.long 0x82615B61
.long 0xD0C6005C, 0x00000A80
.long 0xD1000047, 0x01728D0E
.long 0xE050D000, 0x80187047
.long 0xBF8C0F7E
.long 0x022AF115
.long 0x81858105
.long 0xBF05CE05
.long 0xBF850186
	;; [unrolled: 10-line block ×15, first 2 shown]
.long 0x022AE115
.long 0xBF8C0F7B
.long 0x022AF115
.long 0xBF8C0F7A
.long 0x022B0115
.long 0xBF8C0F79
.long 0x022B1115
.long 0xBF8C0F78
.long 0x022B2115
.long 0xBF8C0F77
.long 0x022B3115
.long 0xBF8C0F76
.long 0x022B4115
.long 0xBF8C0F75
.long 0x022B5115
.long 0xBF8C0F74
.long 0x022B6115
.long 0xBF8C0F73
.long 0x022B7115
.long 0xBF8C0F72
.long 0x022B8115
.long 0xBF8C0F71
.long 0x022B9115
.long 0xBF8C0F70
.long 0x022BA115
.long 0xBF8200C3
.long 0xBF8C0F7C
.long 0x022AD115
.long 0xBF8C0F7B
.long 0x022AE115
.long 0xBF8C0F7A
.long 0x022AF115
.long 0xBF8C0F79
.long 0x022B0115
.long 0xBF8C0F78
.long 0x022B1115
.long 0xBF8C0F77
.long 0x022B2115
.long 0xBF8C0F76
.long 0x022B3115
.long 0xBF8C0F75
.long 0x022B4115
.long 0xBF8C0F74
.long 0x022B5115
.long 0xBF8C0F73
.long 0x022B6115
.long 0xBF8C0F72
.long 0x022B7115
.long 0xBF8C0F71
.long 0x022B8115
.long 0xBF8C0F70
.long 0x022B9115
.long 0xBF8200A8
.long 0xBF8C0F7B
.long 0x022AD115
.long 0xBF8C0F7A
.long 0x022AE115
.long 0xBF8C0F79
.long 0x022AF115
.long 0xBF8C0F78
.long 0x022B0115
.long 0xBF8C0F77
.long 0x022B1115
.long 0xBF8C0F76
.long 0x022B2115
.long 0xBF8C0F75
.long 0x022B3115
.long 0xBF8C0F74
.long 0x022B4115
.long 0xBF8C0F73
.long 0x022B5115
.long 0xBF8C0F72
.long 0x022B6115
.long 0xBF8C0F71
.long 0x022B7115
.long 0xBF8C0F70
.long 0x022B8115
.long 0xBF82008F
.long 0xBF8C0F7A
.long 0x022AD115
.long 0xBF8C0F79
.long 0x022AE115
.long 0xBF8C0F78
.long 0x022AF115
.long 0xBF8C0F77
.long 0x022B0115
.long 0xBF8C0F76
.long 0x022B1115
.long 0xBF8C0F75
.long 0x022B2115
.long 0xBF8C0F74
.long 0x022B3115
.long 0xBF8C0F73
.long 0x022B4115
.long 0xBF8C0F72
.long 0x022B5115
.long 0xBF8C0F71
.long 0x022B6115
.long 0xBF8C0F70
.long 0x022B7115
.long 0xBF820078
.long 0xBF8C0F79
.long 0x022AD115
.long 0xBF8C0F78
.long 0x022AE115
.long 0xBF8C0F77
.long 0x022AF115
.long 0xBF8C0F76
.long 0x022B0115
.long 0xBF8C0F75
.long 0x022B1115
.long 0xBF8C0F74
.long 0x022B2115
.long 0xBF8C0F73
.long 0x022B3115
.long 0xBF8C0F72
.long 0x022B4115
.long 0xBF8C0F71
.long 0x022B5115
.long 0xBF8C0F70
.long 0x022B6115
.long 0xBF820063
.long 0xBF8C0F78
.long 0x022AD115
.long 0xBF8C0F77
.long 0x022AE115
.long 0xBF8C0F76
.long 0x022AF115
.long 0xBF8C0F75
.long 0x022B0115
.long 0xBF8C0F74
.long 0x022B1115
.long 0xBF8C0F73
.long 0x022B2115
.long 0xBF8C0F72
.long 0x022B3115
.long 0xBF8C0F71
.long 0x022B4115
.long 0xBF8C0F70
.long 0x022B5115
.long 0xBF820050
.long 0xBF8C0F77
.long 0x022AD115
.long 0xBF8C0F76
.long 0x022AE115
.long 0xBF8C0F75
.long 0x022AF115
.long 0xBF8C0F74
.long 0x022B0115
.long 0xBF8C0F73
.long 0x022B1115
.long 0xBF8C0F72
.long 0x022B2115
.long 0xBF8C0F71
.long 0x022B3115
.long 0xBF8C0F70
.long 0x022B4115
.long 0xBF82003F
.long 0xBF8C0F76
.long 0x022AD115
.long 0xBF8C0F75
.long 0x022AE115
.long 0xBF8C0F74
.long 0x022AF115
.long 0xBF8C0F73
.long 0x022B0115
.long 0xBF8C0F72
.long 0x022B1115
.long 0xBF8C0F71
.long 0x022B2115
.long 0xBF8C0F70
.long 0x022B3115
.long 0xBF820030
.long 0xBF8C0F75
.long 0x022AD115
.long 0xBF8C0F74
.long 0x022AE115
.long 0xBF8C0F73
.long 0x022AF115
.long 0xBF8C0F72
.long 0x022B0115
.long 0xBF8C0F71
.long 0x022B1115
.long 0xBF8C0F70
.long 0x022B2115
.long 0xBF820023
.long 0xBF8C0F74
.long 0x022AD115
.long 0xBF8C0F73
.long 0x022AE115
.long 0xBF8C0F72
.long 0x022AF115
.long 0xBF8C0F71
.long 0x022B0115
.long 0xBF8C0F70
.long 0x022B1115
.long 0xBF820018
.long 0xBF8C0F73
.long 0x022AD115
.long 0xBF8C0F72
.long 0x022AE115
.long 0xBF8C0F71
.long 0x022AF115
.long 0xBF8C0F70
.long 0x022B0115
.long 0xBF82000F
.long 0xBF8C0F72
.long 0x022AD115
.long 0xBF8C0F71
.long 0x022AE115
.long 0xBF8C0F70
.long 0x022AF115
.long 0xBF820008
.long 0xBF8C0F71
.long 0x022AD115
.long 0xBF8C0F70
.long 0x022AE115
.long 0xBF820003
.long 0xBF8C0F70
.long 0x022AD115
.long 0xBF820000
.long 0x7E8C02FF, 0x80000000
.long 0xBEE00016
.long 0xBEE10017
	;; [unrolled: 1-line block ×4, first 2 shown]
.long 0xE050D000, 0x80181D16
.long 0xBE850032
.long 0x81858105
.long 0x80605A60
.long 0x82615B61
.long 0xBF008005
.long 0xBF850209
.long 0xE050D000, 0x80186816
.long 0x81858105
.long 0x80605A60
.long 0x82615B61
.long 0xBF008005
.long 0xBF8501FF
.long 0xE050D000, 0x80187016
.long 0x81858105
.long 0x80605A60
.long 0x82615B61
.long 0xBF008005
.long 0xBF8501F3
	;; [unrolled: 6-line block ×15, first 2 shown]
.long 0x80605A60
.long 0x82615B61
.long 0xD0C6005C, 0x00000A80
.long 0xD1000047, 0x01728D16
.long 0xE050D000, 0x80186847
.long 0xBF8C0F7E
.long 0x023AE11D
.long 0x81858105
.long 0xBF05CE05
.long 0xBF850193
.long 0x80605A60
.long 0x82615B61
.long 0xD0C6005C, 0x00000A80
.long 0xD1000047, 0x01728D16
.long 0xE050D000, 0x80187047
.long 0xBF8C0F7E
.long 0x023AF11D
.long 0x81858105
.long 0xBF05CE05
.long 0xBF850186
.long 0x80605A60
.long 0x82615B61
.long 0xD0C6005C, 0x00000A80
.long 0xD1000047, 0x01728D16
.long 0xE050D000, 0x80187847
.long 0xBF8C0F7E
.long 0x023B011D
.long 0x81858105
.long 0xBF05CE05
.long 0xBF850179
.long 0x80605A60
.long 0x82615B61
.long 0xD0C6005C, 0x00000A80
.long 0xD1000047, 0x01728D16
.long 0xE050D000, 0x80188047
.long 0xBF8C0F7E
.long 0x023B111D
.long 0x81858105
.long 0xBF05CE05
.long 0xBF85016C
.long 0x80605A60
.long 0x82615B61
.long 0xD0C6005C, 0x00000A80
.long 0xD1000047, 0x01728D16
.long 0xE050D000, 0x80188847
.long 0xBF8C0F7E
.long 0x023B211D
.long 0x81858105
.long 0xBF05CE05
.long 0xBF85015F
.long 0x80605A60
.long 0x82615B61
.long 0xD0C6005C, 0x00000A80
.long 0xD1000047, 0x01728D16
.long 0xE050D000, 0x80189047
.long 0xBF8C0F7E
.long 0x023B311D
.long 0x81858105
.long 0xBF05CE05
.long 0xBF850152
.long 0x80605A60
.long 0x82615B61
.long 0xD0C6005C, 0x00000A80
.long 0xD1000047, 0x01728D16
.long 0xE050D000, 0x80189847
.long 0xBF8C0F7E
.long 0x023B411D
.long 0x81858105
.long 0xBF05CE05
.long 0xBF850145
.long 0x80605A60
.long 0x82615B61
.long 0xD0C6005C, 0x00000A80
.long 0xD1000047, 0x01728D16
.long 0xE050D000, 0x8018A047
.long 0xBF8C0F7E
.long 0x023B511D
.long 0x81858105
.long 0xBF05CE05
.long 0xBF850138
.long 0x80605A60
.long 0x82615B61
.long 0xD0C6005C, 0x00000A80
.long 0xD1000047, 0x01728D16
.long 0xE050D000, 0x8018A847
.long 0xBF8C0F7E
.long 0x023B611D
.long 0x81858105
.long 0xBF05CE05
.long 0xBF85012B
.long 0x80605A60
.long 0x82615B61
.long 0xD0C6005C, 0x00000A80
.long 0xD1000047, 0x01728D16
.long 0xE050D000, 0x8018B047
.long 0xBF8C0F7E
.long 0x023B711D
.long 0x81858105
.long 0xBF05CE05
.long 0xBF85011E
.long 0x80605A60
.long 0x82615B61
.long 0xD0C6005C, 0x00000A80
.long 0xD1000047, 0x01728D16
.long 0xE050D000, 0x8018B847
.long 0xBF8C0F7E
.long 0x023B811D
.long 0x81858105
.long 0xBF05CE05
.long 0xBF850111
.long 0x80605A60
.long 0x82615B61
.long 0xD0C6005C, 0x00000A80
.long 0xD1000047, 0x01728D16
.long 0xE050D000, 0x8018C047
.long 0xBF8C0F7E
.long 0x023B911D
.long 0x81858105
.long 0xBF05CE05
.long 0xBF850104
.long 0x80605A60
.long 0x82615B61
.long 0xD0C6005C, 0x00000A80
.long 0xD1000047, 0x01728D16
.long 0xE050D000, 0x8018C847
.long 0xBF8C0F7E
.long 0x023BA11D
.long 0x81858105
.long 0xBF05CE05
.long 0xBF8500F7
.long 0x80605A60
.long 0x82615B61
.long 0xD0C6005C, 0x00000A80
.long 0xD1000047, 0x01728D16
.long 0xE050D000, 0x8018D047
.long 0xBF8C0F7E
.long 0x023BB11D
.long 0x81858105
.long 0xBF05CE05
.long 0xBF8500EA
.long 0x80605A60
.long 0x82615B61
.long 0xD0C6005C, 0x00000A80
.long 0xD1000047, 0x01728D16
.long 0xE050D000, 0x8018D847
.long 0xBF02CE05
.long 0xBF85FF3B
.long 0xBF8C0F7D
.long 0x023AD11D
.long 0xBF8C0F7C
.long 0x023AE11D
.long 0xBF8C0F7B
	;; [unrolled: 1-line block ×221, first 2 shown]
.long 0x7E8C02FF, 0x80000000
.long 0xBEE00016
.long 0xBEE10017
	;; [unrolled: 1-line block ×4, first 2 shown]
.long 0xE050D000, 0x8018251E
.long 0xBE850032
.long 0x81858105
	;; [unrolled: 1-line block ×6, first 2 shown]
.long 0xE050D000, 0x8018681E
.long 0x81858105
.long 0x80605A60
.long 0x82615B61
.long 0xBF008005
.long 0xBF8501FF
.long 0xE050D000, 0x8018701E
.long 0x81858105
.long 0x80605A60
.long 0x82615B61
.long 0xBF008005
.long 0xBF8501F3
	;; [unrolled: 6-line block ×15, first 2 shown]
.long 0x80605A60
.long 0x82615B61
.long 0xD0C6005C, 0x00000A80
.long 0xD1000047, 0x01728D1E
.long 0xE050D000, 0x80186847
.long 0xBF8C0F7E
.long 0x024AE125
.long 0x81858105
.long 0xBF05CE05
.long 0xBF850193
.long 0x80605A60
.long 0x82615B61
.long 0xD0C6005C, 0x00000A80
.long 0xD1000047, 0x01728D1E
.long 0xE050D000, 0x80187047
.long 0xBF8C0F7E
.long 0x024AF125
.long 0x81858105
.long 0xBF05CE05
.long 0xBF850186
	;; [unrolled: 10-line block ×15, first 2 shown]
.long 0x024AE125
.long 0xBF8C0F7B
	;; [unrolled: 1-line block ×221, first 2 shown]
.long 0x7E8C02FF, 0x80000000
.long 0xBEE00016
.long 0xBEE10017
	;; [unrolled: 1-line block ×4, first 2 shown]
.long 0xE050D000, 0x80182D26
.long 0xBE850032
.long 0x81858105
	;; [unrolled: 1-line block ×6, first 2 shown]
.long 0xE050D000, 0x80186826
.long 0x81858105
.long 0x80605A60
.long 0x82615B61
.long 0xBF008005
.long 0xBF8501FF
.long 0xE050D000, 0x80187026
.long 0x81858105
.long 0x80605A60
.long 0x82615B61
.long 0xBF008005
.long 0xBF8501F3
	;; [unrolled: 6-line block ×15, first 2 shown]
.long 0x80605A60
.long 0x82615B61
.long 0xD0C6005C, 0x00000A80
.long 0xD1000047, 0x01728D26
.long 0xE050D000, 0x80186847
.long 0xBF8C0F7E
.long 0x025AE12D
.long 0x81858105
.long 0xBF05CE05
.long 0xBF850193
.long 0x80605A60
.long 0x82615B61
.long 0xD0C6005C, 0x00000A80
.long 0xD1000047, 0x01728D26
.long 0xE050D000, 0x80187047
.long 0xBF8C0F7E
.long 0x025AF12D
.long 0x81858105
.long 0xBF05CE05
.long 0xBF850186
	;; [unrolled: 10-line block ×15, first 2 shown]
.long 0x025AE12D
.long 0xBF8C0F7B
	;; [unrolled: 1-line block ×221, first 2 shown]
.long 0x7E8C02FF, 0x80000000
.long 0xBEE00016
.long 0xBEE10017
	;; [unrolled: 1-line block ×4, first 2 shown]
.long 0xE050D000, 0x8018352E
.long 0xBE850032
.long 0x81858105
	;; [unrolled: 1-line block ×6, first 2 shown]
.long 0xE050D000, 0x8018682E
.long 0x81858105
.long 0x80605A60
.long 0x82615B61
.long 0xBF008005
.long 0xBF8501FF
.long 0xE050D000, 0x8018702E
.long 0x81858105
.long 0x80605A60
.long 0x82615B61
.long 0xBF008005
.long 0xBF8501F3
	;; [unrolled: 6-line block ×15, first 2 shown]
.long 0x80605A60
.long 0x82615B61
.long 0xD0C6005C, 0x00000A80
.long 0xD1000047, 0x01728D2E
.long 0xE050D000, 0x80186847
.long 0xBF8C0F7E
.long 0x026AE135
.long 0x81858105
.long 0xBF05CE05
.long 0xBF850193
.long 0x80605A60
.long 0x82615B61
.long 0xD0C6005C, 0x00000A80
.long 0xD1000047, 0x01728D2E
.long 0xE050D000, 0x80187047
.long 0xBF8C0F7E
.long 0x026AF135
.long 0x81858105
.long 0xBF05CE05
.long 0xBF850186
	;; [unrolled: 10-line block ×15, first 2 shown]
.long 0x026AE135
.long 0xBF8C0F7B
	;; [unrolled: 1-line block ×221, first 2 shown]
.long 0x7E8C02FF, 0x80000000
.long 0xBEE00016
.long 0xBEE10017
	;; [unrolled: 1-line block ×4, first 2 shown]
.long 0xE050D000, 0x80183D36
.long 0xBE850032
.long 0x81858105
.long 0x80605A60
.long 0x82615B61
.long 0xBF008005
.long 0xBF850209
.long 0xE050D000, 0x80186836
.long 0x81858105
.long 0x80605A60
.long 0x82615B61
.long 0xBF008005
.long 0xBF8501FF
.long 0xE050D000, 0x80187036
.long 0x81858105
.long 0x80605A60
.long 0x82615B61
.long 0xBF008005
.long 0xBF8501F3
	;; [unrolled: 6-line block ×15, first 2 shown]
.long 0x80605A60
.long 0x82615B61
.long 0xD0C6005C, 0x00000A80
.long 0xD1000047, 0x01728D36
.long 0xE050D000, 0x80186847
.long 0xBF8C0F7E
.long 0x027AE13D
.long 0x81858105
.long 0xBF05CE05
.long 0xBF850193
.long 0x80605A60
.long 0x82615B61
.long 0xD0C6005C, 0x00000A80
.long 0xD1000047, 0x01728D36
.long 0xE050D000, 0x80187047
.long 0xBF8C0F7E
.long 0x027AF13D
.long 0x81858105
.long 0xBF05CE05
.long 0xBF850186
	;; [unrolled: 10-line block ×15, first 2 shown]
.long 0x027AE13D
.long 0xBF8C0F7B
	;; [unrolled: 1-line block ×221, first 2 shown]
.long 0x7E8C02FF, 0x80000000
.long 0xBEE00016
.long 0xBEE10017
	;; [unrolled: 1-line block ×4, first 2 shown]
.long 0xE050D000, 0x8018453E
.long 0xBE850032
.long 0x81858105
	;; [unrolled: 1-line block ×6, first 2 shown]
.long 0xE050D000, 0x8018683E
.long 0x81858105
.long 0x80605A60
.long 0x82615B61
.long 0xBF008005
.long 0xBF8501FF
.long 0xE050D000, 0x8018703E
.long 0x81858105
.long 0x80605A60
.long 0x82615B61
.long 0xBF008005
.long 0xBF8501F3
	;; [unrolled: 6-line block ×15, first 2 shown]
.long 0x80605A60
.long 0x82615B61
.long 0xD0C6005C, 0x00000A80
.long 0xD1000047, 0x01728D3E
.long 0xE050D000, 0x80186847
.long 0xBF8C0F7E
.long 0x028AE145
.long 0x81858105
.long 0xBF05CE05
.long 0xBF850193
.long 0x80605A60
.long 0x82615B61
.long 0xD0C6005C, 0x00000A80
.long 0xD1000047, 0x01728D3E
.long 0xE050D000, 0x80187047
.long 0xBF8C0F7E
.long 0x028AF145
.long 0x81858105
.long 0xBF05CE05
.long 0xBF850186
	;; [unrolled: 10-line block ×15, first 2 shown]
.long 0x028AE145
.long 0xBF8C0F7B
	;; [unrolled: 1-line block ×230, first 2 shown]
.long 0xD0CC0038, 0x0001004A
.long 0xD100000C, 0x00E218F2
.long 0x0A1A1B0C
.long 0xD3A0000D, 0x14361431
.long 0x021A1B0B
.long 0x0A1A1A3E
.long 0x0A1A1AFF, 0x4038AA3B
.long 0x7E1A410D
.long 0xBF800000
.long 0x021A1AF2
.long 0x7E1A450D
.long 0xBF800000
.long 0xD1CB000D, 0x03CA1AF5
.long 0x0A1A1A3F
.long 0x7E1A150D
.long 0xE068D000, 0x80140D07
.long 0xBF800000
.long 0xD0CC0038, 0x0001004A
.long 0xD1000014, 0x00E228F2
.long 0x0A2A2B14
.long 0xD3A01015, 0x14562431
.long 0x022A2B13
.long 0x0A2A2A3E
.long 0x0A2A2AFF, 0x4038AA3B
.long 0x7E2A4115
.long 0xBF800000
.long 0x022A2AF2
.long 0x7E2A4515
.long 0xBF800000
.long 0xD1CB0015, 0x03CA2AF5
.long 0x0A2A2A3F
.long 0x7E2A1515
.long 0xE068D000, 0x8014150F
.long 0xBF800000
	;; [unrolled: 17-line block ×8, first 2 shown]
.long 0xBF800000
.long 0xBF8212F9
.long 0x7E8C02FF, 0x80000000
.long 0xD0C90054, 0x00003900
	;; [unrolled: 1-line block ×3, first 2 shown]
.long 0x86D85854
.long 0xD1FE0006, 0x02060102
.long 0xD1000006, 0x01620D46
	;; [unrolled: 1-line block ×5, first 2 shown]
.long 0x24101082
.long 0xD1000008, 0x01621146
.long 0xBF8CC07F
.long 0xBF8A0000
.long 0xD86C0000, 0x0B000008
.long 0x24120082
.long 0xE0501000, 0x80120C09
.long 0xD1FE0006, 0x020A0103
.long 0xD1000006, 0x01620D46
.long 0xD1FE0007, 0x02060103
.long 0xD1000007, 0x01620F46
.long 0xD1196A04, 0x00010300
.long 0xD0C90054, 0x00003904
.long 0xD0C90058, 0x00003B01
.long 0x86D85854
.long 0xD1FE000E, 0x02060902
.long 0xD100000E, 0x01621D46
.long 0xE0941000, 0x8004120E
.long 0x925402FF, 0x00000080
.long 0xD1350010, 0x0000A904
.long 0x24202082
.long 0xD1000010, 0x01622146
.long 0xD86C0000, 0x13000010
.long 0x24220882
.long 0xE0501000, 0x80121411
.long 0xD1FE000E, 0x020A0903
.long 0xD100000E, 0x01621D46
.long 0xD1FE000F, 0x02060903
.long 0xD100000F, 0x01621F46
.long 0xD1196A04, 0x00010500
.long 0xD0C90054, 0x00003904
.long 0xD0C90058, 0x00003B01
.long 0x86D85854
.long 0xD1FE0016, 0x02060902
.long 0xD1000016, 0x01622D46
.long 0xE0901000, 0x80041A16
.long 0x925402FF, 0x00000080
.long 0xD1350018, 0x0000A904
.long 0x24303082
.long 0xD1000018, 0x01623146
	;; [unrolled: 18-line block ×7, first 2 shown]
.long 0xD86C0000, 0x43000040
.long 0x24820882
.long 0xE0501000, 0x80124441
.long 0xD1FE003E, 0x020A0903
	;; [unrolled: 1-line block ×13, first 2 shown]
.long 0xBF800001
.long 0xE070D000, 0x80030D06
.long 0xE070D000, 0x8003150E
	;; [unrolled: 1-line block ×8, first 2 shown]
.long 0xBF800000
.long 0x92421415
	;; [unrolled: 1-line block ×16, first 2 shown]
.long 0xC2330CCC, 0x00000000
.long 0x965F811C
.long 0x925E811C
	;; [unrolled: 1-line block ×15, first 2 shown]
.long 0x7E8C02FF, 0x80000000
.long 0xBEE00016
.long 0xBEE10017
	;; [unrolled: 1-line block ×7, first 2 shown]
.long 0xE050D000, 0x80180D06
.long 0xBE850032
.long 0x81858105
	;; [unrolled: 1-line block ×6, first 2 shown]
.long 0xE050D000, 0x80186806
.long 0x81858105
.long 0x80605A60
.long 0x82615B61
.long 0xBF008005
.long 0xBF8501FF
.long 0xE050D000, 0x80187006
.long 0x81858105
.long 0x80605A60
.long 0x82615B61
.long 0xBF008005
.long 0xBF8501F3
	;; [unrolled: 6-line block ×15, first 2 shown]
.long 0x80605A60
.long 0x82615B61
.long 0xD0C6005C, 0x00000A80
.long 0xD1000047, 0x01728D06
.long 0xE050D000, 0x80186847
.long 0xBF8C0F7E
.long 0x021AE10D
.long 0x81858105
.long 0xBF05CE05
.long 0xBF850193
.long 0x80605A60
.long 0x82615B61
.long 0xD0C6005C, 0x00000A80
.long 0xD1000047, 0x01728D06
.long 0xE050D000, 0x80187047
.long 0xBF8C0F7E
.long 0x021AF10D
.long 0x81858105
.long 0xBF05CE05
.long 0xBF850186
	;; [unrolled: 10-line block ×15, first 2 shown]
.long 0x021AE10D
.long 0xBF8C0F7B
	;; [unrolled: 1-line block ×221, first 2 shown]
.long 0x7E8C02FF, 0x80000000
.long 0xBEE00016
.long 0xBEE10017
	;; [unrolled: 1-line block ×4, first 2 shown]
.long 0xE050D000, 0x8018150E
.long 0xBE850032
.long 0x81858105
	;; [unrolled: 1-line block ×6, first 2 shown]
.long 0xE050D000, 0x8018680E
.long 0x81858105
.long 0x80605A60
.long 0x82615B61
.long 0xBF008005
.long 0xBF8501FF
.long 0xE050D000, 0x8018700E
.long 0x81858105
.long 0x80605A60
.long 0x82615B61
.long 0xBF008005
.long 0xBF8501F3
	;; [unrolled: 6-line block ×15, first 2 shown]
.long 0x80605A60
.long 0x82615B61
.long 0xD0C6005C, 0x00000A80
.long 0xD1000047, 0x01728D0E
.long 0xE050D000, 0x80186847
.long 0xBF8C0F7E
.long 0x022AE115
.long 0x81858105
.long 0xBF05CE05
.long 0xBF850193
.long 0x80605A60
.long 0x82615B61
.long 0xD0C6005C, 0x00000A80
.long 0xD1000047, 0x01728D0E
.long 0xE050D000, 0x80187047
.long 0xBF8C0F7E
.long 0x022AF115
.long 0x81858105
.long 0xBF05CE05
.long 0xBF850186
.long 0x80605A60
.long 0x82615B61
.long 0xD0C6005C, 0x00000A80
.long 0xD1000047, 0x01728D0E
.long 0xE050D000, 0x80187847
.long 0xBF8C0F7E
.long 0x022B0115
.long 0x81858105
.long 0xBF05CE05
.long 0xBF850179
.long 0x80605A60
.long 0x82615B61
.long 0xD0C6005C, 0x00000A80
.long 0xD1000047, 0x01728D0E
.long 0xE050D000, 0x80188047
.long 0xBF8C0F7E
.long 0x022B1115
.long 0x81858105
.long 0xBF05CE05
.long 0xBF85016C
.long 0x80605A60
.long 0x82615B61
.long 0xD0C6005C, 0x00000A80
.long 0xD1000047, 0x01728D0E
.long 0xE050D000, 0x80188847
.long 0xBF8C0F7E
.long 0x022B2115
.long 0x81858105
.long 0xBF05CE05
.long 0xBF85015F
.long 0x80605A60
.long 0x82615B61
.long 0xD0C6005C, 0x00000A80
.long 0xD1000047, 0x01728D0E
.long 0xE050D000, 0x80189047
.long 0xBF8C0F7E
.long 0x022B3115
.long 0x81858105
.long 0xBF05CE05
.long 0xBF850152
.long 0x80605A60
.long 0x82615B61
.long 0xD0C6005C, 0x00000A80
.long 0xD1000047, 0x01728D0E
.long 0xE050D000, 0x80189847
.long 0xBF8C0F7E
.long 0x022B4115
.long 0x81858105
.long 0xBF05CE05
.long 0xBF850145
.long 0x80605A60
.long 0x82615B61
.long 0xD0C6005C, 0x00000A80
.long 0xD1000047, 0x01728D0E
.long 0xE050D000, 0x8018A047
.long 0xBF8C0F7E
.long 0x022B5115
.long 0x81858105
.long 0xBF05CE05
.long 0xBF850138
.long 0x80605A60
.long 0x82615B61
.long 0xD0C6005C, 0x00000A80
.long 0xD1000047, 0x01728D0E
.long 0xE050D000, 0x8018A847
.long 0xBF8C0F7E
.long 0x022B6115
.long 0x81858105
.long 0xBF05CE05
.long 0xBF85012B
.long 0x80605A60
.long 0x82615B61
.long 0xD0C6005C, 0x00000A80
.long 0xD1000047, 0x01728D0E
.long 0xE050D000, 0x8018B047
.long 0xBF8C0F7E
.long 0x022B7115
.long 0x81858105
.long 0xBF05CE05
.long 0xBF85011E
.long 0x80605A60
.long 0x82615B61
.long 0xD0C6005C, 0x00000A80
.long 0xD1000047, 0x01728D0E
.long 0xE050D000, 0x8018B847
.long 0xBF8C0F7E
.long 0x022B8115
.long 0x81858105
.long 0xBF05CE05
.long 0xBF850111
.long 0x80605A60
.long 0x82615B61
.long 0xD0C6005C, 0x00000A80
.long 0xD1000047, 0x01728D0E
.long 0xE050D000, 0x8018C047
.long 0xBF8C0F7E
.long 0x022B9115
.long 0x81858105
.long 0xBF05CE05
.long 0xBF850104
.long 0x80605A60
.long 0x82615B61
.long 0xD0C6005C, 0x00000A80
.long 0xD1000047, 0x01728D0E
.long 0xE050D000, 0x8018C847
.long 0xBF8C0F7E
.long 0x022BA115
.long 0x81858105
.long 0xBF05CE05
.long 0xBF8500F7
.long 0x80605A60
.long 0x82615B61
.long 0xD0C6005C, 0x00000A80
.long 0xD1000047, 0x01728D0E
.long 0xE050D000, 0x8018D047
.long 0xBF8C0F7E
.long 0x022BB115
.long 0x81858105
.long 0xBF05CE05
.long 0xBF8500EA
.long 0x80605A60
.long 0x82615B61
.long 0xD0C6005C, 0x00000A80
.long 0xD1000047, 0x01728D0E
.long 0xE050D000, 0x8018D847
.long 0xBF02CE05
.long 0xBF85FF3B
.long 0xBF8C0F7D
.long 0x022AD115
.long 0xBF8C0F7C
.long 0x022AE115
.long 0xBF8C0F7B
	;; [unrolled: 1-line block ×221, first 2 shown]
.long 0x7E8C02FF, 0x80000000
.long 0xBEE00016
.long 0xBEE10017
	;; [unrolled: 1-line block ×4, first 2 shown]
.long 0xE050D000, 0x80181D16
.long 0xBE850032
.long 0x81858105
	;; [unrolled: 1-line block ×6, first 2 shown]
.long 0xE050D000, 0x80186816
.long 0x81858105
.long 0x80605A60
.long 0x82615B61
.long 0xBF008005
.long 0xBF8501FF
.long 0xE050D000, 0x80187016
.long 0x81858105
.long 0x80605A60
.long 0x82615B61
.long 0xBF008005
.long 0xBF8501F3
.long 0xE050D000, 0x80187816
.long 0x81858105
.long 0x80605A60
.long 0x82615B61
.long 0xBF008005
.long 0xBF8501E5
.long 0xE050D000, 0x80188016
.long 0x81858105
.long 0x80605A60
.long 0x82615B61
.long 0xBF008005
.long 0xBF8501D5
.long 0xE050D000, 0x80188816
.long 0x81858105
.long 0x80605A60
.long 0x82615B61
.long 0xBF008005
.long 0xBF8501C3
.long 0xE050D000, 0x80189016
.long 0x81858105
.long 0x80605A60
.long 0x82615B61
.long 0xBF008005
.long 0xBF8501AF
.long 0xE050D000, 0x80189816
.long 0x81858105
.long 0x80605A60
.long 0x82615B61
.long 0xBF008005
.long 0xBF850199
.long 0xE050D000, 0x8018A016
.long 0x81858105
.long 0x80605A60
.long 0x82615B61
.long 0xBF008005
.long 0xBF850181
.long 0xE050D000, 0x8018A816
.long 0x81858105
.long 0x80605A60
.long 0x82615B61
.long 0xBF008005
.long 0xBF850167
.long 0xE050D000, 0x8018B016
.long 0x81858105
.long 0x80605A60
.long 0x82615B61
.long 0xBF008005
.long 0xBF85014B
.long 0xE050D000, 0x8018B816
.long 0x81858105
.long 0x80605A60
.long 0x82615B61
.long 0xBF008005
.long 0xBF85012D
.long 0xE050D000, 0x8018C016
.long 0x81858105
.long 0x80605A60
.long 0x82615B61
.long 0xBF008005
.long 0xBF85010D
.long 0xE050D000, 0x8018C816
.long 0x81858105
.long 0x80605A60
.long 0x82615B61
.long 0xBF008005
.long 0xBF8500EB
.long 0xE050D000, 0x8018D016
.long 0x81858105
.long 0x80605A60
.long 0x82615B61
.long 0xBF008005
.long 0xBF8500C7
.long 0xE050D000, 0x8018D816
.long 0xBF8C0F7E
.long 0x023AD11D
.long 0x81858105
.long 0xBF05CE05
.long 0xBF8501A0
.long 0x80605A60
.long 0x82615B61
.long 0xD0C6005C, 0x00000A80
.long 0xD1000047, 0x01728D16
.long 0xE050D000, 0x80186847
.long 0xBF8C0F7E
.long 0x023AE11D
.long 0x81858105
.long 0xBF05CE05
.long 0xBF850193
.long 0x80605A60
.long 0x82615B61
.long 0xD0C6005C, 0x00000A80
.long 0xD1000047, 0x01728D16
.long 0xE050D000, 0x80187047
.long 0xBF8C0F7E
.long 0x023AF11D
.long 0x81858105
.long 0xBF05CE05
.long 0xBF850186
	;; [unrolled: 10-line block ×15, first 2 shown]
.long 0x023AE11D
.long 0xBF8C0F7B
	;; [unrolled: 1-line block ×221, first 2 shown]
.long 0x7E8C02FF, 0x80000000
.long 0xBEE00016
.long 0xBEE10017
	;; [unrolled: 1-line block ×4, first 2 shown]
.long 0xE050D000, 0x8018251E
.long 0xBE850032
.long 0x81858105
	;; [unrolled: 1-line block ×6, first 2 shown]
.long 0xE050D000, 0x8018681E
.long 0x81858105
.long 0x80605A60
.long 0x82615B61
.long 0xBF008005
.long 0xBF8501FF
.long 0xE050D000, 0x8018701E
.long 0x81858105
.long 0x80605A60
.long 0x82615B61
.long 0xBF008005
.long 0xBF8501F3
	;; [unrolled: 6-line block ×15, first 2 shown]
.long 0x80605A60
.long 0x82615B61
.long 0xD0C6005C, 0x00000A80
.long 0xD1000047, 0x01728D1E
.long 0xE050D000, 0x80186847
.long 0xBF8C0F7E
.long 0x024AE125
.long 0x81858105
.long 0xBF05CE05
.long 0xBF850193
.long 0x80605A60
.long 0x82615B61
.long 0xD0C6005C, 0x00000A80
.long 0xD1000047, 0x01728D1E
.long 0xE050D000, 0x80187047
.long 0xBF8C0F7E
.long 0x024AF125
.long 0x81858105
.long 0xBF05CE05
.long 0xBF850186
	;; [unrolled: 10-line block ×15, first 2 shown]
.long 0x024AE125
.long 0xBF8C0F7B
	;; [unrolled: 1-line block ×221, first 2 shown]
.long 0x7E8C02FF, 0x80000000
.long 0xBEE00016
.long 0xBEE10017
	;; [unrolled: 1-line block ×4, first 2 shown]
.long 0xE050D000, 0x80182D26
.long 0xBE850032
.long 0x81858105
.long 0x80605A60
.long 0x82615B61
.long 0xBF008005
.long 0xBF850209
.long 0xE050D000, 0x80186826
.long 0x81858105
.long 0x80605A60
.long 0x82615B61
.long 0xBF008005
.long 0xBF8501FF
.long 0xE050D000, 0x80187026
.long 0x81858105
.long 0x80605A60
.long 0x82615B61
.long 0xBF008005
.long 0xBF8501F3
	;; [unrolled: 6-line block ×15, first 2 shown]
.long 0x80605A60
.long 0x82615B61
.long 0xD0C6005C, 0x00000A80
.long 0xD1000047, 0x01728D26
.long 0xE050D000, 0x80186847
.long 0xBF8C0F7E
.long 0x025AE12D
.long 0x81858105
.long 0xBF05CE05
.long 0xBF850193
.long 0x80605A60
.long 0x82615B61
.long 0xD0C6005C, 0x00000A80
.long 0xD1000047, 0x01728D26
.long 0xE050D000, 0x80187047
.long 0xBF8C0F7E
.long 0x025AF12D
.long 0x81858105
.long 0xBF05CE05
.long 0xBF850186
	;; [unrolled: 10-line block ×15, first 2 shown]
.long 0x025AE12D
.long 0xBF8C0F7B
	;; [unrolled: 1-line block ×221, first 2 shown]
.long 0x7E8C02FF, 0x80000000
.long 0xBEE00016
.long 0xBEE10017
	;; [unrolled: 1-line block ×4, first 2 shown]
.long 0xE050D000, 0x8018352E
.long 0xBE850032
.long 0x81858105
	;; [unrolled: 1-line block ×6, first 2 shown]
.long 0xE050D000, 0x8018682E
.long 0x81858105
.long 0x80605A60
.long 0x82615B61
.long 0xBF008005
.long 0xBF8501FF
.long 0xE050D000, 0x8018702E
.long 0x81858105
.long 0x80605A60
.long 0x82615B61
.long 0xBF008005
.long 0xBF8501F3
	;; [unrolled: 6-line block ×15, first 2 shown]
.long 0x80605A60
.long 0x82615B61
.long 0xD0C6005C, 0x00000A80
.long 0xD1000047, 0x01728D2E
.long 0xE050D000, 0x80186847
.long 0xBF8C0F7E
.long 0x026AE135
.long 0x81858105
.long 0xBF05CE05
.long 0xBF850193
.long 0x80605A60
.long 0x82615B61
.long 0xD0C6005C, 0x00000A80
.long 0xD1000047, 0x01728D2E
.long 0xE050D000, 0x80187047
.long 0xBF8C0F7E
.long 0x026AF135
.long 0x81858105
.long 0xBF05CE05
.long 0xBF850186
	;; [unrolled: 10-line block ×15, first 2 shown]
.long 0x026AE135
.long 0xBF8C0F7B
.long 0x026AF135
.long 0xBF8C0F7A
.long 0x026B0135
.long 0xBF8C0F79
.long 0x026B1135
.long 0xBF8C0F78
.long 0x026B2135
.long 0xBF8C0F77
.long 0x026B3135
.long 0xBF8C0F76
.long 0x026B4135
.long 0xBF8C0F75
.long 0x026B5135
.long 0xBF8C0F74
.long 0x026B6135
.long 0xBF8C0F73
.long 0x026B7135
.long 0xBF8C0F72
.long 0x026B8135
.long 0xBF8C0F71
.long 0x026B9135
.long 0xBF8C0F70
.long 0x026BA135
.long 0xBF8200C3
.long 0xBF8C0F7C
.long 0x026AD135
.long 0xBF8C0F7B
.long 0x026AE135
.long 0xBF8C0F7A
.long 0x026AF135
.long 0xBF8C0F79
.long 0x026B0135
.long 0xBF8C0F78
.long 0x026B1135
.long 0xBF8C0F77
.long 0x026B2135
.long 0xBF8C0F76
.long 0x026B3135
.long 0xBF8C0F75
.long 0x026B4135
.long 0xBF8C0F74
.long 0x026B5135
.long 0xBF8C0F73
.long 0x026B6135
.long 0xBF8C0F72
.long 0x026B7135
.long 0xBF8C0F71
.long 0x026B8135
.long 0xBF8C0F70
.long 0x026B9135
.long 0xBF8200A8
.long 0xBF8C0F7B
.long 0x026AD135
.long 0xBF8C0F7A
.long 0x026AE135
.long 0xBF8C0F79
.long 0x026AF135
.long 0xBF8C0F78
.long 0x026B0135
.long 0xBF8C0F77
.long 0x026B1135
.long 0xBF8C0F76
.long 0x026B2135
.long 0xBF8C0F75
.long 0x026B3135
.long 0xBF8C0F74
.long 0x026B4135
.long 0xBF8C0F73
.long 0x026B5135
.long 0xBF8C0F72
.long 0x026B6135
.long 0xBF8C0F71
.long 0x026B7135
.long 0xBF8C0F70
.long 0x026B8135
.long 0xBF82008F
.long 0xBF8C0F7A
.long 0x026AD135
.long 0xBF8C0F79
.long 0x026AE135
.long 0xBF8C0F78
.long 0x026AF135
.long 0xBF8C0F77
.long 0x026B0135
.long 0xBF8C0F76
.long 0x026B1135
.long 0xBF8C0F75
.long 0x026B2135
.long 0xBF8C0F74
.long 0x026B3135
.long 0xBF8C0F73
.long 0x026B4135
.long 0xBF8C0F72
.long 0x026B5135
.long 0xBF8C0F71
.long 0x026B6135
.long 0xBF8C0F70
.long 0x026B7135
.long 0xBF820078
.long 0xBF8C0F79
.long 0x026AD135
.long 0xBF8C0F78
.long 0x026AE135
.long 0xBF8C0F77
.long 0x026AF135
.long 0xBF8C0F76
.long 0x026B0135
.long 0xBF8C0F75
.long 0x026B1135
.long 0xBF8C0F74
.long 0x026B2135
.long 0xBF8C0F73
.long 0x026B3135
.long 0xBF8C0F72
.long 0x026B4135
.long 0xBF8C0F71
.long 0x026B5135
.long 0xBF8C0F70
.long 0x026B6135
.long 0xBF820063
.long 0xBF8C0F78
.long 0x026AD135
.long 0xBF8C0F77
.long 0x026AE135
.long 0xBF8C0F76
.long 0x026AF135
.long 0xBF8C0F75
.long 0x026B0135
.long 0xBF8C0F74
.long 0x026B1135
.long 0xBF8C0F73
.long 0x026B2135
.long 0xBF8C0F72
.long 0x026B3135
.long 0xBF8C0F71
.long 0x026B4135
.long 0xBF8C0F70
.long 0x026B5135
.long 0xBF820050
.long 0xBF8C0F77
.long 0x026AD135
.long 0xBF8C0F76
.long 0x026AE135
.long 0xBF8C0F75
.long 0x026AF135
.long 0xBF8C0F74
.long 0x026B0135
.long 0xBF8C0F73
.long 0x026B1135
.long 0xBF8C0F72
.long 0x026B2135
.long 0xBF8C0F71
.long 0x026B3135
.long 0xBF8C0F70
.long 0x026B4135
.long 0xBF82003F
.long 0xBF8C0F76
.long 0x026AD135
.long 0xBF8C0F75
.long 0x026AE135
.long 0xBF8C0F74
.long 0x026AF135
.long 0xBF8C0F73
.long 0x026B0135
.long 0xBF8C0F72
.long 0x026B1135
.long 0xBF8C0F71
.long 0x026B2135
.long 0xBF8C0F70
.long 0x026B3135
.long 0xBF820030
.long 0xBF8C0F75
.long 0x026AD135
.long 0xBF8C0F74
.long 0x026AE135
.long 0xBF8C0F73
.long 0x026AF135
.long 0xBF8C0F72
.long 0x026B0135
.long 0xBF8C0F71
.long 0x026B1135
.long 0xBF8C0F70
.long 0x026B2135
.long 0xBF820023
.long 0xBF8C0F74
.long 0x026AD135
.long 0xBF8C0F73
.long 0x026AE135
.long 0xBF8C0F72
.long 0x026AF135
.long 0xBF8C0F71
.long 0x026B0135
.long 0xBF8C0F70
.long 0x026B1135
.long 0xBF820018
.long 0xBF8C0F73
.long 0x026AD135
.long 0xBF8C0F72
.long 0x026AE135
.long 0xBF8C0F71
.long 0x026AF135
.long 0xBF8C0F70
.long 0x026B0135
.long 0xBF82000F
.long 0xBF8C0F72
.long 0x026AD135
.long 0xBF8C0F71
.long 0x026AE135
.long 0xBF8C0F70
.long 0x026AF135
.long 0xBF820008
.long 0xBF8C0F71
.long 0x026AD135
.long 0xBF8C0F70
.long 0x026AE135
.long 0xBF820003
.long 0xBF8C0F70
.long 0x026AD135
.long 0xBF820000
.long 0x7E8C02FF, 0x80000000
.long 0xBEE00016
.long 0xBEE10017
	;; [unrolled: 1-line block ×4, first 2 shown]
.long 0xE050D000, 0x80183D36
.long 0xBE850032
.long 0x81858105
	;; [unrolled: 1-line block ×6, first 2 shown]
.long 0xE050D000, 0x80186836
.long 0x81858105
.long 0x80605A60
.long 0x82615B61
.long 0xBF008005
.long 0xBF8501FF
.long 0xE050D000, 0x80187036
.long 0x81858105
.long 0x80605A60
.long 0x82615B61
.long 0xBF008005
.long 0xBF8501F3
	;; [unrolled: 6-line block ×15, first 2 shown]
.long 0x80605A60
.long 0x82615B61
.long 0xD0C6005C, 0x00000A80
.long 0xD1000047, 0x01728D36
.long 0xE050D000, 0x80186847
.long 0xBF8C0F7E
.long 0x027AE13D
.long 0x81858105
.long 0xBF05CE05
.long 0xBF850193
.long 0x80605A60
.long 0x82615B61
.long 0xD0C6005C, 0x00000A80
.long 0xD1000047, 0x01728D36
.long 0xE050D000, 0x80187047
.long 0xBF8C0F7E
.long 0x027AF13D
.long 0x81858105
.long 0xBF05CE05
.long 0xBF850186
.long 0x80605A60
.long 0x82615B61
.long 0xD0C6005C, 0x00000A80
.long 0xD1000047, 0x01728D36
.long 0xE050D000, 0x80187847
.long 0xBF8C0F7E
.long 0x027B013D
.long 0x81858105
.long 0xBF05CE05
.long 0xBF850179
.long 0x80605A60
.long 0x82615B61
.long 0xD0C6005C, 0x00000A80
.long 0xD1000047, 0x01728D36
.long 0xE050D000, 0x80188047
.long 0xBF8C0F7E
.long 0x027B113D
.long 0x81858105
.long 0xBF05CE05
.long 0xBF85016C
.long 0x80605A60
.long 0x82615B61
.long 0xD0C6005C, 0x00000A80
.long 0xD1000047, 0x01728D36
.long 0xE050D000, 0x80188847
.long 0xBF8C0F7E
.long 0x027B213D
.long 0x81858105
.long 0xBF05CE05
.long 0xBF85015F
.long 0x80605A60
.long 0x82615B61
.long 0xD0C6005C, 0x00000A80
.long 0xD1000047, 0x01728D36
.long 0xE050D000, 0x80189047
.long 0xBF8C0F7E
.long 0x027B313D
.long 0x81858105
.long 0xBF05CE05
.long 0xBF850152
.long 0x80605A60
.long 0x82615B61
.long 0xD0C6005C, 0x00000A80
.long 0xD1000047, 0x01728D36
.long 0xE050D000, 0x80189847
.long 0xBF8C0F7E
.long 0x027B413D
.long 0x81858105
.long 0xBF05CE05
.long 0xBF850145
.long 0x80605A60
.long 0x82615B61
.long 0xD0C6005C, 0x00000A80
.long 0xD1000047, 0x01728D36
.long 0xE050D000, 0x8018A047
.long 0xBF8C0F7E
.long 0x027B513D
.long 0x81858105
.long 0xBF05CE05
.long 0xBF850138
.long 0x80605A60
.long 0x82615B61
.long 0xD0C6005C, 0x00000A80
.long 0xD1000047, 0x01728D36
.long 0xE050D000, 0x8018A847
.long 0xBF8C0F7E
.long 0x027B613D
.long 0x81858105
.long 0xBF05CE05
.long 0xBF85012B
.long 0x80605A60
.long 0x82615B61
.long 0xD0C6005C, 0x00000A80
.long 0xD1000047, 0x01728D36
.long 0xE050D000, 0x8018B047
.long 0xBF8C0F7E
.long 0x027B713D
.long 0x81858105
.long 0xBF05CE05
.long 0xBF85011E
.long 0x80605A60
.long 0x82615B61
.long 0xD0C6005C, 0x00000A80
.long 0xD1000047, 0x01728D36
.long 0xE050D000, 0x8018B847
.long 0xBF8C0F7E
.long 0x027B813D
.long 0x81858105
.long 0xBF05CE05
.long 0xBF850111
.long 0x80605A60
.long 0x82615B61
.long 0xD0C6005C, 0x00000A80
.long 0xD1000047, 0x01728D36
.long 0xE050D000, 0x8018C047
.long 0xBF8C0F7E
.long 0x027B913D
.long 0x81858105
.long 0xBF05CE05
.long 0xBF850104
.long 0x80605A60
.long 0x82615B61
.long 0xD0C6005C, 0x00000A80
.long 0xD1000047, 0x01728D36
.long 0xE050D000, 0x8018C847
.long 0xBF8C0F7E
.long 0x027BA13D
.long 0x81858105
.long 0xBF05CE05
.long 0xBF8500F7
.long 0x80605A60
.long 0x82615B61
.long 0xD0C6005C, 0x00000A80
.long 0xD1000047, 0x01728D36
.long 0xE050D000, 0x8018D047
.long 0xBF8C0F7E
.long 0x027BB13D
.long 0x81858105
.long 0xBF05CE05
.long 0xBF8500EA
.long 0x80605A60
.long 0x82615B61
.long 0xD0C6005C, 0x00000A80
.long 0xD1000047, 0x01728D36
.long 0xE050D000, 0x8018D847
.long 0xBF02CE05
.long 0xBF85FF3B
.long 0xBF8C0F7D
.long 0x027AD13D
.long 0xBF8C0F7C
.long 0x027AE13D
.long 0xBF8C0F7B
	;; [unrolled: 1-line block ×221, first 2 shown]
.long 0x7E8C02FF, 0x80000000
.long 0xBEE00016
.long 0xBEE10017
	;; [unrolled: 1-line block ×4, first 2 shown]
.long 0xE050D000, 0x8018453E
.long 0xBE850032
.long 0x81858105
	;; [unrolled: 1-line block ×6, first 2 shown]
.long 0xE050D000, 0x8018683E
.long 0x81858105
.long 0x80605A60
.long 0x82615B61
.long 0xBF008005
.long 0xBF8501FF
.long 0xE050D000, 0x8018703E
.long 0x81858105
.long 0x80605A60
.long 0x82615B61
.long 0xBF008005
.long 0xBF8501F3
	;; [unrolled: 6-line block ×15, first 2 shown]
.long 0x80605A60
.long 0x82615B61
.long 0xD0C6005C, 0x00000A80
.long 0xD1000047, 0x01728D3E
.long 0xE050D000, 0x80186847
.long 0xBF8C0F7E
.long 0x028AE145
.long 0x81858105
.long 0xBF05CE05
.long 0xBF850193
.long 0x80605A60
.long 0x82615B61
.long 0xD0C6005C, 0x00000A80
.long 0xD1000047, 0x01728D3E
.long 0xE050D000, 0x80187047
.long 0xBF8C0F7E
.long 0x028AF145
.long 0x81858105
.long 0xBF05CE05
.long 0xBF850186
	;; [unrolled: 10-line block ×15, first 2 shown]
.long 0x028AE145
.long 0xBF8C0F7B
	;; [unrolled: 1-line block ×230, first 2 shown]
.long 0xD0CC0038, 0x0001004A
.long 0xD100000C, 0x00E218F2
.long 0x0A1A1B0C
.long 0xD3A0000D, 0x14361431
.long 0x021A1B0B
.long 0x0A081AFF, 0x3D372713
.long 0xD1CB0004, 0x03CA090D
.long 0x0A08090D
.long 0x0A0808FF, 0x40135761
.long 0x7E084104
.long 0xBF800000
.long 0x020808F2
.long 0x7E084504
.long 0xBF800000
.long 0xD1CB0004, 0x03D208F5
.long 0x0A08090D
.long 0x0A0808F0
.long 0x0A1A083E
.long 0x7E1A150D
.long 0xE068D000, 0x80140D07
.long 0xBF800000
.long 0xD0CC0038, 0x0001004A
.long 0xD1000014, 0x00E228F2
.long 0x0A2A2B14
.long 0xD3A01015, 0x14562431
.long 0x022A2B13
.long 0x0A082AFF, 0x3D372713
.long 0xD1CB0004, 0x03CA0915
.long 0x0A080915
.long 0x0A0808FF, 0x40135761
.long 0x7E084104
.long 0xBF800000
.long 0x020808F2
.long 0x7E084504
.long 0xBF800000
.long 0xD1CB0004, 0x03D208F5
.long 0x0A080915
.long 0x0A0808F0
.long 0x0A2A083E
.long 0x7E2A1515
.long 0xE068D000, 0x8014150F
.long 0xBF800000
	;; [unrolled: 21-line block ×8, first 2 shown]
.long 0xBF800000
.long 0xBF820000
	;; [unrolled: 1-line block ×3, first 2 shown]
.long 0x815684FF, 0x00009EE8
.long 0x80545654
.long 0x82558055
	;; [unrolled: 1-line block ×6, first 2 shown]
.long 0xC0020CDA, 0x00000000
.long 0xBEC100F2
.long 0xBF128036
	;; [unrolled: 1-line block ×3, first 2 shown]
.long 0xC002105B, 0x00000000
.long 0xBEC80038
.long 0xBEC90039
.long 0xBECB00FF, 0x00020000
.long 0xBF128038
.long 0xBF840002
	;; [unrolled: 1-line block ×12, first 2 shown]
.long 0xBECF00FF, 0x00020000
.long 0xBF12803A
.long 0xBF840002
	;; [unrolled: 1-line block ×8, first 2 shown]
.long 0x924202FF, 0x00000080
.long 0x6810CC42
.long 0x9242043D
	;; [unrolled: 1-line block ×4, first 2 shown]
.long 0xE0501000, 0x80130408
.long 0x2410CC82
.long 0xBF8C0F70
.long 0xBF8A0000
.long 0xD81A0000, 0x00000408
.long 0xBF820012
.long 0xB4BC0004
.long 0xBF850010
.long 0x924E4E82
.long 0x924202FF, 0x00000080
.long 0x6810CC42
	;; [unrolled: 5-line block ×4, first 2 shown]
.long 0x7E080230
.long 0xBF8CC07F
.long 0xD1050004, 0x00006704
.long 0xD1050004, 0x00008304
.long 0xBF800000
.long 0x7E600504
	;; [unrolled: 1-line block ×4, first 2 shown]
.long 0x86541CFF, 0x0000007F
.long 0x805514C1
.long 0xBF095502
	;; [unrolled: 1-line block ×29, first 2 shown]
.long 0x924202FF, 0x00000080
.long 0xD135000F, 0x00008500
.long 0x241E1E82
.long 0xBF8CC07F
	;; [unrolled: 1-line block ×3, first 2 shown]
.long 0xD9FE0000, 0x1800000F
.long 0xD9FE0010, 0x1C00000F
.long 0x24200082
.long 0xE05C1000, 0x80122010
.long 0xE05C1010, 0x80122410
	;; [unrolled: 1-line block ×11, first 2 shown]
.long 0xBF800001
.long 0xBF800000
	;; [unrolled: 1-line block ×11, first 2 shown]
.long 0xD0CC0038, 0x0001004A
.long 0xD1000020, 0x00E240F2
.long 0xD1000021, 0x00E242F2
.long 0xD3B14028, 0x18025120
.long 0xD0CC0038, 0x0001004A
.long 0xD1000022, 0x00E244F2
.long 0xD1000023, 0x00E246F2
.long 0xD3B1402A, 0x18025522
.long 0xD0CC0038, 0x0001004A
.long 0xD1000024, 0x00E248F2
.long 0xD1000025, 0x00E24AF2
.long 0xD3B1402C, 0x18025924
.long 0xD0CC0038, 0x0001004A
.long 0xD1000026, 0x00E24CF2
.long 0xD1000027, 0x00E24EF2
.long 0xD3B1402E, 0x18025D26
.long 0xD3B24028, 0x18025118
.long 0xD3B2402A, 0x1802551A
.long 0xD3B2402C, 0x1802591C
.long 0xD3B2402E, 0x18025D1E
.long 0x7E501528
.long 0x7E521529
.long 0xD2A00028, 0x00025328
.long 0x7E54152A
.long 0x7E56152B
.long 0xD2A00029, 0x0002572A
	;; [unrolled: 3-line block ×4, first 2 shown]
.long 0xE07CD000, 0x8003280D
.long 0xBF800000
.long 0xBF800000
	;; [unrolled: 1-line block ×3, first 2 shown]
.long 0x924202FF, 0x00000080
.long 0xD135000F, 0x00008500
.long 0x241E1E82
.long 0xBF8CC07F
.long 0xBF8A0000
.long 0xD9FE0000, 0x1800000F
.long 0xD9FE0010, 0x1C00000F
.long 0x24200082
.long 0xE05C1000, 0x80122010
.long 0xE05C1010, 0x80122410
	;; [unrolled: 1-line block ×11, first 2 shown]
.long 0xBF800001
.long 0xBF800000
	;; [unrolled: 1-line block ×11, first 2 shown]
.long 0xD0CC0038, 0x0001004A
.long 0xD1000020, 0x00E240F2
	;; [unrolled: 1-line block ×28, first 2 shown]
.long 0x7E501528
.long 0x7E521529
.long 0xD2A00028, 0x00025328
.long 0x7E54152A
.long 0x7E56152B
.long 0xD2A00029, 0x0002572A
	;; [unrolled: 3-line block ×4, first 2 shown]
.long 0xE07CD000, 0x8003280D
.long 0xBF800000
.long 0xBF800000
	;; [unrolled: 1-line block ×3, first 2 shown]
.long 0x924202FF, 0x00000080
.long 0xD135000F, 0x00008500
.long 0x241E1E82
.long 0xBF8CC07F
	;; [unrolled: 1-line block ×3, first 2 shown]
.long 0xD9FE0000, 0x1800000F
.long 0xD9FE0010, 0x1C00000F
.long 0x24200082
.long 0xE05C1000, 0x80122010
.long 0xE05C1010, 0x80122410
	;; [unrolled: 1-line block ×11, first 2 shown]
.long 0xBF800001
.long 0xBF800000
	;; [unrolled: 1-line block ×11, first 2 shown]
.long 0xD0CC0038, 0x0001004A
.long 0xD1000020, 0x00E240F2
	;; [unrolled: 1-line block ×21, first 2 shown]
.long 0x1450503F
.long 0x00505080
.long 0xD044006A, 0x00007D29
.long 0x1452523F
.long 0x00525280
.long 0xD044006A, 0x00007D2A
	;; [unrolled: 3-line block ×7, first 2 shown]
.long 0x145E5E3F
.long 0x005E5E80
	;; [unrolled: 1-line block ×4, first 2 shown]
.long 0xD2A00028, 0x00025328
.long 0x7E54152A
.long 0x7E56152B
.long 0xD2A00029, 0x0002572A
.long 0x7E58152C
.long 0x7E5A152D
	;; [unrolled: 3-line block ×3, first 2 shown]
.long 0xD2A0002B, 0x00025F2E
.long 0xE07CD000, 0x8003280D
.long 0xBF800000
.long 0xBF800000
	;; [unrolled: 1-line block ×3, first 2 shown]
.long 0x924202FF, 0x00000080
.long 0xD135000F, 0x00008500
.long 0x241E1E82
.long 0xBF8CC07F
	;; [unrolled: 1-line block ×3, first 2 shown]
.long 0xD9FE0000, 0x1800000F
.long 0xD9FE0010, 0x1C00000F
.long 0x24200082
.long 0xE05C1000, 0x80122010
.long 0xE05C1010, 0x80122410
	;; [unrolled: 1-line block ×11, first 2 shown]
.long 0xBF800001
.long 0xBF800000
	;; [unrolled: 1-line block ×11, first 2 shown]
.long 0xD0CC0038, 0x0001004A
.long 0xD1000020, 0x00E240F2
	;; [unrolled: 1-line block ×22, first 2 shown]
.long 0x0A080928
.long 0x0A0808FF, 0x40135761
.long 0x7E084104
.long 0xBF800000
.long 0x020808F2
.long 0x7E084504
.long 0xBF800000
.long 0xD1CB0004, 0x03D208F5
.long 0x0A080928
.long 0x0A5008F0
.long 0x0A0852FF, 0x3D372713
.long 0xD1CB0004, 0x03CA0929
.long 0x0A080929
.long 0x0A0808FF, 0x40135761
.long 0x7E084104
.long 0xBF800000
.long 0x020808F2
.long 0x7E084504
.long 0xBF800000
.long 0xD1CB0004, 0x03D208F5
.long 0x0A080929
.long 0x0A5208F0
.long 0x0A0854FF, 0x3D372713
.long 0xD1CB0004, 0x03CA092A
	;; [unrolled: 12-line block ×7, first 2 shown]
.long 0x0A08092F
.long 0x0A0808FF, 0x40135761
.long 0x7E084104
.long 0xBF800000
	;; [unrolled: 1-line block ×5, first 2 shown]
.long 0xD1CB0004, 0x03D208F5
.long 0x0A08092F
.long 0x0A5E08F0
	;; [unrolled: 1-line block ×4, first 2 shown]
.long 0xD2A00028, 0x00025328
.long 0x7E54152A
.long 0x7E56152B
.long 0xD2A00029, 0x0002572A
.long 0x7E58152C
.long 0x7E5A152D
	;; [unrolled: 3-line block ×3, first 2 shown]
.long 0xD2A0002B, 0x00025F2E
.long 0xE07CD000, 0x8003280D
.long 0xBF800000
.long 0xBF800000
	;; [unrolled: 1-line block ×3, first 2 shown]
.long 0x924202FF, 0x00000080
.long 0xD135000F, 0x00008500
.long 0x241E1E82
.long 0xBF8CC07F
	;; [unrolled: 1-line block ×3, first 2 shown]
.long 0xD9FE0000, 0x1800000F
.long 0xD9FE0010, 0x1C00000F
.long 0x24200082
.long 0xE05C1000, 0x80122010
.long 0xE05C1010, 0x80122410
.long 0xD1FE000D, 0x02060103
.long 0xD3D84028, 0x18000100
.long 0xD3D84029, 0x18000104
.long 0xD3D8402A, 0x18000101
.long 0xD3D8402B, 0x18000105
.long 0xD3D8402C, 0x18000102
.long 0xD3D8402D, 0x18000106
.long 0xD3D8402E, 0x18000103
.long 0xD3D8402F, 0x18000107
.long 0xBF800001
.long 0xBF800000
	;; [unrolled: 1-line block ×11, first 2 shown]
.long 0xD0CC0038, 0x0001004A
.long 0xD1000020, 0x00E240F2
	;; [unrolled: 1-line block ×20, first 2 shown]
.long 0x0A08503E
.long 0xD046006A, 0x00010128
.long 0x00505104
.long 0x0A08523E
.long 0xD046006A, 0x00010129
.long 0x00525304
	;; [unrolled: 3-line block ×8, first 2 shown]
.long 0x7E501528
.long 0x7E521529
.long 0xD2A00028, 0x00025328
.long 0x7E54152A
.long 0x7E56152B
.long 0xD2A00029, 0x0002572A
.long 0x7E58152C
.long 0x7E5A152D
.long 0xD2A0002A, 0x00025B2C
.long 0x7E5C152E
.long 0x7E5E152F
.long 0xD2A0002B, 0x00025F2E
.long 0xE07CD000, 0x8003280D
.long 0xBF800000
.long 0xBF800000
	;; [unrolled: 1-line block ×3, first 2 shown]
.long 0x924202FF, 0x00000080
.long 0xD135000F, 0x00008500
.long 0x241E1E82
.long 0xBF8CC07F
	;; [unrolled: 1-line block ×3, first 2 shown]
.long 0xD9FE0000, 0x1800000F
.long 0xD9FE0010, 0x1C00000F
.long 0x24200082
.long 0xE05C1000, 0x80122010
.long 0xE05C1010, 0x80122410
	;; [unrolled: 1-line block ×11, first 2 shown]
.long 0xBF800001
.long 0xBF800000
.long 0x0A505030
.long 0x0A525230
.long 0x0A545430
.long 0x0A565630
.long 0x0A585830
.long 0x0A5A5A30
.long 0x0A5C5C30
.long 0x0A5E5E30
.long 0xBF8C0000
.long 0xD0CC0038, 0x0001004A
.long 0xD1000020, 0x00E240F2
	;; [unrolled: 1-line block ×28, first 2 shown]
.long 0x7E501528
.long 0x7E521529
.long 0xD2A00028, 0x00025328
.long 0x7E54152A
.long 0x7E56152B
.long 0xD2A00029, 0x0002572A
	;; [unrolled: 3-line block ×4, first 2 shown]
.long 0xE07CD000, 0x8003280D
.long 0xBF800000
.long 0xBF800000
	;; [unrolled: 1-line block ×3, first 2 shown]
.long 0x924202FF, 0x00000080
.long 0xD135000F, 0x00008500
.long 0x241E1E82
.long 0xBF8CC07F
	;; [unrolled: 1-line block ×3, first 2 shown]
.long 0xD9FE0000, 0x1800000F
.long 0xD9FE0010, 0x1C00000F
.long 0x24200082
.long 0xE05C1000, 0x80122010
.long 0xE05C1010, 0x80122410
	;; [unrolled: 1-line block ×11, first 2 shown]
.long 0xBF800001
.long 0xBF800000
	;; [unrolled: 1-line block ×11, first 2 shown]
.long 0xD0CC0038, 0x0001004A
.long 0xD1000020, 0x00E240F2
	;; [unrolled: 1-line block ×21, first 2 shown]
.long 0x7E504128
.long 0xBF800000
.long 0x025050F2
.long 0x7E504528
.long 0xBF800000
.long 0x0A5252FF, 0xBFB8AA3B
.long 0x7E524129
.long 0xBF800000
.long 0x025252F2
.long 0x7E524529
.long 0xBF800000
.long 0x0A5454FF, 0xBFB8AA3B
	;; [unrolled: 6-line block ×7, first 2 shown]
.long 0x7E5E412F
.long 0xBF800000
	;; [unrolled: 1-line block ×7, first 2 shown]
.long 0xD2A00028, 0x00025328
.long 0x7E54152A
.long 0x7E56152B
.long 0xD2A00029, 0x0002572A
.long 0x7E58152C
.long 0x7E5A152D
	;; [unrolled: 3-line block ×3, first 2 shown]
.long 0xD2A0002B, 0x00025F2E
.long 0xE07CD000, 0x8003280D
.long 0xBF800000
.long 0xBF800000
	;; [unrolled: 1-line block ×3, first 2 shown]
.long 0x924202FF, 0x00000080
.long 0xD135000F, 0x00008500
.long 0x241E1E82
.long 0xBF8CC07F
	;; [unrolled: 1-line block ×3, first 2 shown]
.long 0xD9FE0000, 0x1800000F
.long 0xD9FE0010, 0x1C00000F
.long 0x24200082
.long 0xE05C1000, 0x80122010
.long 0xE05C1010, 0x80122410
.long 0xD1FE000D, 0x02060103
.long 0xD3D84028, 0x18000100
.long 0xD3D84029, 0x18000104
.long 0xD3D8402A, 0x18000101
.long 0xD3D8402B, 0x18000105
.long 0xD3D8402C, 0x18000102
.long 0xD3D8402D, 0x18000106
.long 0xD3D8402E, 0x18000103
.long 0xD3D8402F, 0x18000107
.long 0xBF800001
.long 0xBF800000
	;; [unrolled: 1-line block ×11, first 2 shown]
.long 0xD0CC0038, 0x0001004A
.long 0xD1000020, 0x00E240F2
.long 0xD1000021, 0x00E242F2
.long 0xD3B14028, 0x18025120
.long 0xD0CC0038, 0x0001004A
.long 0xD1000022, 0x00E244F2
.long 0xD1000023, 0x00E246F2
.long 0xD3B1402A, 0x18025522
.long 0xD0CC0038, 0x0001004A
.long 0xD1000024, 0x00E248F2
.long 0xD1000025, 0x00E24AF2
.long 0xD3B1402C, 0x18025924
.long 0xD0CC0038, 0x0001004A
.long 0xD1000026, 0x00E24CF2
.long 0xD1000027, 0x00E24EF2
.long 0xD3B1402E, 0x18025D26
.long 0xD3B24028, 0x18025118
.long 0xD3B2402A, 0x1802551A
.long 0xD3B2402C, 0x1802591C
.long 0xD3B2402E, 0x18025D1E
.long 0x0A50503E
.long 0x0A5050FF, 0x4038AA3B
.long 0x7E504128
.long 0xBF800000
.long 0x025050F2
.long 0x7E504528
.long 0xBF800000
.long 0xD1CB0028, 0x03CA50F5
.long 0x0A50503F
.long 0x0A52523E
.long 0x0A5252FF, 0x4038AA3B
.long 0x7E524129
.long 0xBF800000
.long 0x025252F2
.long 0x7E524529
.long 0xBF800000
.long 0xD1CB0029, 0x03CA52F5
.long 0x0A52523F
	;; [unrolled: 9-line block ×8, first 2 shown]
.long 0x7E501528
.long 0x7E521529
.long 0xD2A00028, 0x00025328
.long 0x7E54152A
.long 0x7E56152B
.long 0xD2A00029, 0x0002572A
	;; [unrolled: 3-line block ×4, first 2 shown]
.long 0xE07CD000, 0x8003280D
.long 0xBF800000
.long 0xBF800000
	;; [unrolled: 1-line block ×3, first 2 shown]
.long 0x924202FF, 0x00000080
.long 0xD135000F, 0x00008500
.long 0x241E1E82
.long 0xBF8CC07F
	;; [unrolled: 1-line block ×3, first 2 shown]
.long 0xD9FE0000, 0x1800000F
.long 0xD9FE0010, 0x1C00000F
.long 0x24200082
.long 0xE05C1000, 0x80122010
.long 0xE05C1010, 0x80122410
	;; [unrolled: 1-line block ×11, first 2 shown]
.long 0xBF800001
.long 0xBF800000
	;; [unrolled: 1-line block ×11, first 2 shown]
.long 0xD0CC0038, 0x0001004A
.long 0xD1000020, 0x00E240F2
	;; [unrolled: 1-line block ×22, first 2 shown]
.long 0x0A080928
.long 0x0A0808FF, 0x40135761
.long 0x7E084104
.long 0xBF800000
.long 0x020808F2
.long 0x7E084504
.long 0xBF800000
.long 0xD1CB0004, 0x03D208F5
.long 0x0A080928
.long 0x0A0808F0
.long 0x0A50083E
.long 0x0A0852FF, 0x3D372713
.long 0xD1CB0004, 0x03CA0929
.long 0x0A080929
.long 0x0A0808FF, 0x40135761
.long 0x7E084104
.long 0xBF800000
.long 0x020808F2
.long 0x7E084504
.long 0xBF800000
.long 0xD1CB0004, 0x03D208F5
.long 0x0A080929
.long 0x0A0808F0
.long 0x0A52083E
.long 0x0A0854FF, 0x3D372713
.long 0xD1CB0004, 0x03CA092A
	;; [unrolled: 13-line block ×7, first 2 shown]
.long 0x0A08092F
.long 0x0A0808FF, 0x40135761
.long 0x7E084104
.long 0xBF800000
	;; [unrolled: 1-line block ×5, first 2 shown]
.long 0xD1CB0004, 0x03D208F5
.long 0x0A08092F
.long 0x0A0808F0
	;; [unrolled: 1-line block ×5, first 2 shown]
.long 0xD2A00028, 0x00025328
.long 0x7E54152A
.long 0x7E56152B
.long 0xD2A00029, 0x0002572A
.long 0x7E58152C
.long 0x7E5A152D
	;; [unrolled: 3-line block ×3, first 2 shown]
.long 0xD2A0002B, 0x00025F2E
.long 0xE07CD000, 0x8003280D
.long 0xBF800000
.long 0xBF800000
	;; [unrolled: 1-line block ×21, first 2 shown]
.long 0x7E7A02FF, 0x80000000
.long 0xD0C90054, 0x00003900
.long 0xD0C90058, 0x00003B01
.long 0x86D85854
.long 0x925402FF, 0x00000080
.long 0xD135000E, 0x0000A900
.long 0x241C1C82
.long 0xD100000E, 0x01621D3D
.long 0xBF8CC07F
.long 0xBF8A0000
.long 0xD86C0000, 0x1000000E
.long 0x241E0082
.long 0xE0501000, 0x8012110F
.long 0xD1FE000D, 0x02060103
.long 0xD100000D, 0x01621B3D
.long 0xD1196A04, 0x00010300
.long 0xD0C90054, 0x00003904
.long 0xD0C90058, 0x00003B01
.long 0x86D85854
.long 0x925402FF, 0x00000080
.long 0xD1350014, 0x0000A904
.long 0x24282882
.long 0xD1000014, 0x0162293D
.long 0xD86C0000, 0x16000014
.long 0x242A0882
.long 0xE0501000, 0x80121715
.long 0xD1FE0013, 0x02060903
.long 0xD1000013, 0x0162273D
.long 0xD1196A04, 0x00010500
.long 0xD0C90054, 0x00003904
.long 0xD0C90058, 0x00003B01
.long 0x86D85854
.long 0x925402FF, 0x00000080
.long 0xD135001A, 0x0000A904
.long 0x24343482
.long 0xD100001A, 0x0162353D
	;; [unrolled: 13-line block ×7, first 2 shown]
.long 0xD86C0000, 0x3A000038
.long 0x24720882
.long 0xE0501000, 0x80123B39
.long 0xD1FE0037, 0x02060903
	;; [unrolled: 1-line block ×11, first 2 shown]
.long 0xBF800001
.long 0xBF800000
.long 0x0A242430
.long 0x0A303030
.long 0x0A3C3C30
.long 0x0A484830
.long 0x0A545430
.long 0x0A606030
.long 0x0A6C6C30
.long 0x0A787830
.long 0xBF8C0000
.long 0xD0CC0038, 0x0001004A
.long 0xD1000011, 0x00E222F2
.long 0x0A242511
.long 0x02242510
.long 0x7E241512
.long 0xE068D000, 0x8003120D
.long 0xBF800000
.long 0xD0CC0038, 0x0001004A
.long 0xD1000017, 0x00E22EF2
.long 0x0A303117
.long 0x02303116
.long 0x7E301518
.long 0xE068D000, 0x80031813
.long 0xBF800000
	;; [unrolled: 7-line block ×8, first 2 shown]
.long 0xBF800000
.long 0xBF820B2F
.long 0x7E7A02FF, 0x80000000
.long 0xD0C90054, 0x00003900
	;; [unrolled: 1-line block ×3, first 2 shown]
.long 0x86D85854
.long 0x925402FF, 0x00000080
.long 0xD135000E, 0x0000A900
.long 0x241C1C82
.long 0xD100000E, 0x01621D3D
.long 0xBF8CC07F
.long 0xBF8A0000
.long 0xD86C0000, 0x1000000E
.long 0x241E0082
.long 0xE0501000, 0x8012110F
.long 0xD1FE000D, 0x02060103
.long 0xD100000D, 0x01621B3D
.long 0xD1196A04, 0x00010300
.long 0xD0C90054, 0x00003904
.long 0xD0C90058, 0x00003B01
.long 0x86D85854
.long 0x925402FF, 0x00000080
.long 0xD1350014, 0x0000A904
.long 0x24282882
.long 0xD1000014, 0x0162293D
.long 0xD86C0000, 0x16000014
.long 0x242A0882
.long 0xE0501000, 0x80121715
.long 0xD1FE0013, 0x02060903
.long 0xD1000013, 0x0162273D
.long 0xD1196A04, 0x00010500
.long 0xD0C90054, 0x00003904
.long 0xD0C90058, 0x00003B01
.long 0x86D85854
.long 0x925402FF, 0x00000080
.long 0xD135001A, 0x0000A904
.long 0x24343482
.long 0xD100001A, 0x0162353D
	;; [unrolled: 13-line block ×7, first 2 shown]
.long 0xD86C0000, 0x3A000038
.long 0x24720882
.long 0xE0501000, 0x80123B39
.long 0xD1FE0037, 0x02060903
	;; [unrolled: 1-line block ×11, first 2 shown]
.long 0xBF800001
.long 0xBF800000
	;; [unrolled: 1-line block ×11, first 2 shown]
.long 0xD0CC0038, 0x0001004A
.long 0xD1000011, 0x00E222F2
.long 0x0A242511
.long 0x02242510
.long 0x262424FF, 0x7FFFFFFF
.long 0x7E241512
.long 0xE068D000, 0x8003120D
.long 0xBF800000
.long 0xD0CC0038, 0x0001004A
.long 0xD1000017, 0x00E22EF2
.long 0x0A303117
.long 0x02303116
.long 0x263030FF, 0x7FFFFFFF
.long 0x7E301518
.long 0xE068D000, 0x80031813
.long 0xBF800000
	;; [unrolled: 8-line block ×8, first 2 shown]
.long 0xBF800000
.long 0xBF8209F8
.long 0x7E7A02FF, 0x80000000
.long 0xD0C90054, 0x00003900
	;; [unrolled: 1-line block ×3, first 2 shown]
.long 0x86D85854
.long 0x925402FF, 0x00000080
.long 0xD135000E, 0x0000A900
.long 0x241C1C82
.long 0xD100000E, 0x01621D3D
.long 0xBF8CC07F
.long 0xBF8A0000
.long 0xD86C0000, 0x1000000E
.long 0x241E0082
.long 0xE0501000, 0x8012110F
.long 0xD1FE000D, 0x02060103
.long 0xD100000D, 0x01621B3D
.long 0xD1196A04, 0x00010300
.long 0xD0C90054, 0x00003904
.long 0xD0C90058, 0x00003B01
.long 0x86D85854
.long 0x925402FF, 0x00000080
.long 0xD1350014, 0x0000A904
.long 0x24282882
.long 0xD1000014, 0x0162293D
.long 0xD86C0000, 0x16000014
.long 0x242A0882
.long 0xE0501000, 0x80121715
.long 0xD1FE0013, 0x02060903
.long 0xD1000013, 0x0162273D
.long 0xD1196A04, 0x00010500
.long 0xD0C90054, 0x00003904
.long 0xD0C90058, 0x00003B01
.long 0x86D85854
.long 0x925402FF, 0x00000080
.long 0xD135001A, 0x0000A904
.long 0x24343482
.long 0xD100001A, 0x0162353D
	;; [unrolled: 13-line block ×7, first 2 shown]
.long 0xD86C0000, 0x3A000038
.long 0x24720882
.long 0xE0501000, 0x80123B39
.long 0xD1FE0037, 0x02060903
	;; [unrolled: 1-line block ×11, first 2 shown]
.long 0xBF800001
.long 0xBF800000
	;; [unrolled: 1-line block ×11, first 2 shown]
.long 0xD0CC0038, 0x0001004A
.long 0xD1000011, 0x00E222F2
.long 0x0A242511
.long 0x02242510
.long 0xD044006A, 0x00007D12
.long 0x1424243F
.long 0x00242480
.long 0x7E241512
.long 0xE068D000, 0x8003120D
.long 0xBF800000
.long 0xD0CC0038, 0x0001004A
.long 0xD1000017, 0x00E22EF2
.long 0x0A303117
.long 0x02303116
.long 0xD044006A, 0x00007D18
.long 0x1430303F
.long 0x00303080
.long 0x7E301518
.long 0xE068D000, 0x80031813
.long 0xBF800000
	;; [unrolled: 10-line block ×8, first 2 shown]
.long 0xBF800000
.long 0xBF8208B1
.long 0x7E7A02FF, 0x80000000
.long 0xD0C90054, 0x00003900
	;; [unrolled: 1-line block ×3, first 2 shown]
.long 0x86D85854
.long 0x925402FF, 0x00000080
.long 0xD135000E, 0x0000A900
.long 0x241C1C82
.long 0xD100000E, 0x01621D3D
.long 0xBF8CC07F
.long 0xBF8A0000
.long 0xD86C0000, 0x1000000E
.long 0x241E0082
.long 0xE0501000, 0x8012110F
.long 0xD1FE000D, 0x02060103
.long 0xD100000D, 0x01621B3D
.long 0xD1196A04, 0x00010300
.long 0xD0C90054, 0x00003904
.long 0xD0C90058, 0x00003B01
.long 0x86D85854
.long 0x925402FF, 0x00000080
.long 0xD1350014, 0x0000A904
.long 0x24282882
.long 0xD1000014, 0x0162293D
.long 0xD86C0000, 0x16000014
.long 0x242A0882
.long 0xE0501000, 0x80121715
.long 0xD1FE0013, 0x02060903
.long 0xD1000013, 0x0162273D
.long 0xD1196A04, 0x00010500
.long 0xD0C90054, 0x00003904
.long 0xD0C90058, 0x00003B01
.long 0x86D85854
.long 0x925402FF, 0x00000080
.long 0xD135001A, 0x0000A904
.long 0x24343482
.long 0xD100001A, 0x0162353D
	;; [unrolled: 13-line block ×7, first 2 shown]
.long 0xD86C0000, 0x3A000038
.long 0x24720882
.long 0xE0501000, 0x80123B39
.long 0xD1FE0037, 0x02060903
.long 0xD1000037, 0x01626F3D
.long 0xD3D84012, 0x18000100
.long 0xD3D84018, 0x18000104
.long 0xD3D8401E, 0x18000101
.long 0xD3D84024, 0x18000105
.long 0xD3D8402A, 0x18000102
.long 0xD3D84030, 0x18000106
.long 0xD3D84036, 0x18000103
.long 0xD3D8403C, 0x18000107
.long 0xBF800001
.long 0xBF800000
.long 0x0A242430
.long 0x0A303030
.long 0x0A3C3C30
.long 0x0A484830
.long 0x0A545430
.long 0x0A606030
.long 0x0A6C6C30
.long 0x0A787830
.long 0xBF8C0000
.long 0xD0CC0038, 0x0001004A
.long 0xD1000011, 0x00E222F2
.long 0x0A242511
.long 0x02242510
.long 0x0A0824FF, 0x3D372713
.long 0xD1CB0004, 0x03CA0912
.long 0x0A080912
.long 0x0A0808FF, 0x40135761
.long 0x7E084104
.long 0xBF800000
.long 0x020808F2
.long 0x7E084504
.long 0xBF800000
.long 0xD1CB0004, 0x03D208F5
.long 0x0A080912
.long 0x0A2408F0
.long 0x7E241512
.long 0xE068D000, 0x8003120D
.long 0xBF800000
.long 0xD0CC0038, 0x0001004A
.long 0xD1000017, 0x00E22EF2
.long 0x0A303117
.long 0x02303116
.long 0x0A0830FF, 0x3D372713
.long 0xD1CB0004, 0x03CA0918
.long 0x0A080918
.long 0x0A0808FF, 0x40135761
.long 0x7E084104
.long 0xBF800000
.long 0x020808F2
.long 0x7E084504
.long 0xBF800000
.long 0xD1CB0004, 0x03D208F5
.long 0x0A080918
.long 0x0A3008F0
.long 0x7E301518
.long 0xE068D000, 0x80031813
.long 0xBF800000
	;; [unrolled: 19-line block ×8, first 2 shown]
.long 0xBF800000
.long 0xBF82070A
.long 0x7E7A02FF, 0x80000000
.long 0xD0C90054, 0x00003900
	;; [unrolled: 1-line block ×3, first 2 shown]
.long 0x86D85854
.long 0x925402FF, 0x00000080
.long 0xD135000E, 0x0000A900
.long 0x241C1C82
.long 0xD100000E, 0x01621D3D
.long 0xBF8CC07F
.long 0xBF8A0000
.long 0xD86C0000, 0x1000000E
.long 0x241E0082
.long 0xE0501000, 0x8012110F
.long 0xD1FE000D, 0x02060103
.long 0xD100000D, 0x01621B3D
.long 0xD1196A04, 0x00010300
.long 0xD0C90054, 0x00003904
.long 0xD0C90058, 0x00003B01
.long 0x86D85854
.long 0x925402FF, 0x00000080
.long 0xD1350014, 0x0000A904
.long 0x24282882
.long 0xD1000014, 0x0162293D
.long 0xD86C0000, 0x16000014
.long 0x242A0882
.long 0xE0501000, 0x80121715
.long 0xD1FE0013, 0x02060903
.long 0xD1000013, 0x0162273D
.long 0xD1196A04, 0x00010500
.long 0xD0C90054, 0x00003904
.long 0xD0C90058, 0x00003B01
.long 0x86D85854
.long 0x925402FF, 0x00000080
.long 0xD135001A, 0x0000A904
.long 0x24343482
.long 0xD100001A, 0x0162353D
	;; [unrolled: 13-line block ×7, first 2 shown]
.long 0xD86C0000, 0x3A000038
.long 0x24720882
.long 0xE0501000, 0x80123B39
.long 0xD1FE0037, 0x02060903
.long 0xD1000037, 0x01626F3D
.long 0xD3D84012, 0x18000100
.long 0xD3D84018, 0x18000104
.long 0xD3D8401E, 0x18000101
.long 0xD3D84024, 0x18000105
.long 0xD3D8402A, 0x18000102
.long 0xD3D84030, 0x18000106
.long 0xD3D84036, 0x18000103
.long 0xD3D8403C, 0x18000107
.long 0xBF800001
.long 0xBF800000
	;; [unrolled: 1-line block ×11, first 2 shown]
.long 0xD0CC0038, 0x0001004A
.long 0xD1000011, 0x00E222F2
.long 0x0A242511
.long 0x02242510
.long 0x0A08243E
.long 0xD046006A, 0x00010112
.long 0x00242504
.long 0x7E241512
.long 0xE068D000, 0x8003120D
.long 0xBF800000
.long 0xD0CC0038, 0x0001004A
.long 0xD1000017, 0x00E22EF2
.long 0x0A303117
.long 0x02303116
.long 0x0A08303E
.long 0xD046006A, 0x00010118
.long 0x00303104
.long 0x7E301518
.long 0xE068D000, 0x80031813
.long 0xBF800000
	;; [unrolled: 10-line block ×8, first 2 shown]
.long 0xBF800000
.long 0xBF8205C3
.long 0x7E7A02FF, 0x80000000
.long 0xD0C90054, 0x00003900
	;; [unrolled: 1-line block ×3, first 2 shown]
.long 0x86D85854
.long 0x925402FF, 0x00000080
.long 0xD135000E, 0x0000A900
.long 0x241C1C82
.long 0xD100000E, 0x01621D3D
.long 0xBF8CC07F
.long 0xBF8A0000
.long 0xD86C0000, 0x1000000E
.long 0x241E0082
.long 0xE0501000, 0x8012110F
.long 0xD1FE000D, 0x02060103
.long 0xD100000D, 0x01621B3D
.long 0xD1196A04, 0x00010300
.long 0xD0C90054, 0x00003904
.long 0xD0C90058, 0x00003B01
.long 0x86D85854
.long 0x925402FF, 0x00000080
.long 0xD1350014, 0x0000A904
.long 0x24282882
.long 0xD1000014, 0x0162293D
.long 0xD86C0000, 0x16000014
.long 0x242A0882
.long 0xE0501000, 0x80121715
.long 0xD1FE0013, 0x02060903
.long 0xD1000013, 0x0162273D
.long 0xD1196A04, 0x00010500
.long 0xD0C90054, 0x00003904
.long 0xD0C90058, 0x00003B01
.long 0x86D85854
.long 0x925402FF, 0x00000080
.long 0xD135001A, 0x0000A904
.long 0x24343482
.long 0xD100001A, 0x0162353D
	;; [unrolled: 13-line block ×7, first 2 shown]
.long 0xD86C0000, 0x3A000038
.long 0x24720882
.long 0xE0501000, 0x80123B39
.long 0xD1FE0037, 0x02060903
	;; [unrolled: 1-line block ×11, first 2 shown]
.long 0xBF800001
.long 0xBF800000
	;; [unrolled: 1-line block ×11, first 2 shown]
.long 0xD0CC0038, 0x0001004A
.long 0xD1000011, 0x00E222F2
.long 0x0A242511
.long 0x02242510
.long 0xD10B0012, 0x00010112
.long 0x7E241512
.long 0xE068D000, 0x8003120D
.long 0xBF800000
.long 0xD0CC0038, 0x0001004A
.long 0xD1000017, 0x00E22EF2
.long 0x0A303117
.long 0x02303116
.long 0xD10B0018, 0x00010118
.long 0x7E301518
.long 0xE068D000, 0x80031813
.long 0xBF800000
	;; [unrolled: 8-line block ×8, first 2 shown]
.long 0xBF800000
.long 0xBF82048C
.long 0x7E7A02FF, 0x80000000
.long 0xD0C90054, 0x00003900
	;; [unrolled: 1-line block ×3, first 2 shown]
.long 0x86D85854
.long 0x925402FF, 0x00000080
.long 0xD135000E, 0x0000A900
.long 0x241C1C82
.long 0xD100000E, 0x01621D3D
.long 0xBF8CC07F
.long 0xBF8A0000
.long 0xD86C0000, 0x1000000E
.long 0x241E0082
.long 0xE0501000, 0x8012110F
.long 0xD1FE000D, 0x02060103
.long 0xD100000D, 0x01621B3D
.long 0xD1196A04, 0x00010300
.long 0xD0C90054, 0x00003904
.long 0xD0C90058, 0x00003B01
.long 0x86D85854
.long 0x925402FF, 0x00000080
.long 0xD1350014, 0x0000A904
.long 0x24282882
.long 0xD1000014, 0x0162293D
.long 0xD86C0000, 0x16000014
.long 0x242A0882
.long 0xE0501000, 0x80121715
.long 0xD1FE0013, 0x02060903
.long 0xD1000013, 0x0162273D
.long 0xD1196A04, 0x00010500
.long 0xD0C90054, 0x00003904
.long 0xD0C90058, 0x00003B01
.long 0x86D85854
.long 0x925402FF, 0x00000080
.long 0xD135001A, 0x0000A904
.long 0x24343482
.long 0xD100001A, 0x0162353D
	;; [unrolled: 13-line block ×7, first 2 shown]
.long 0xD86C0000, 0x3A000038
.long 0x24720882
.long 0xE0501000, 0x80123B39
.long 0xD1FE0037, 0x02060903
	;; [unrolled: 1-line block ×11, first 2 shown]
.long 0xBF800001
.long 0xBF800000
	;; [unrolled: 1-line block ×11, first 2 shown]
.long 0xD0CC0038, 0x0001004A
.long 0xD1000011, 0x00E222F2
.long 0x0A242511
.long 0x02242510
.long 0x0A2424FF, 0xBFB8AA3B
.long 0x7E244112
.long 0xBF800000
.long 0x022424F2
.long 0x7E244512
.long 0xBF800000
.long 0x7E241512
.long 0xE068D000, 0x8003120D
.long 0xBF800000
.long 0xD0CC0038, 0x0001004A
.long 0xD1000017, 0x00E22EF2
.long 0x0A303117
.long 0x02303116
.long 0x0A3030FF, 0xBFB8AA3B
.long 0x7E304118
.long 0xBF800000
.long 0x023030F2
.long 0x7E304518
.long 0xBF800000
.long 0x7E301518
.long 0xE068D000, 0x80031813
.long 0xBF800000
	;; [unrolled: 13-line block ×8, first 2 shown]
.long 0xBF800000
.long 0xBF82032D
.long 0x7E7A02FF, 0x80000000
.long 0xD0C90054, 0x00003900
	;; [unrolled: 1-line block ×3, first 2 shown]
.long 0x86D85854
.long 0x925402FF, 0x00000080
.long 0xD135000E, 0x0000A900
.long 0x241C1C82
.long 0xD100000E, 0x01621D3D
.long 0xBF8CC07F
.long 0xBF8A0000
.long 0xD86C0000, 0x1000000E
.long 0x241E0082
.long 0xE0501000, 0x8012110F
.long 0xD1FE000D, 0x02060103
.long 0xD100000D, 0x01621B3D
.long 0xD1196A04, 0x00010300
.long 0xD0C90054, 0x00003904
.long 0xD0C90058, 0x00003B01
.long 0x86D85854
.long 0x925402FF, 0x00000080
.long 0xD1350014, 0x0000A904
.long 0x24282882
.long 0xD1000014, 0x0162293D
.long 0xD86C0000, 0x16000014
.long 0x242A0882
.long 0xE0501000, 0x80121715
.long 0xD1FE0013, 0x02060903
.long 0xD1000013, 0x0162273D
.long 0xD1196A04, 0x00010500
.long 0xD0C90054, 0x00003904
.long 0xD0C90058, 0x00003B01
.long 0x86D85854
.long 0x925402FF, 0x00000080
.long 0xD135001A, 0x0000A904
.long 0x24343482
.long 0xD100001A, 0x0162353D
	;; [unrolled: 13-line block ×7, first 2 shown]
.long 0xD86C0000, 0x3A000038
.long 0x24720882
.long 0xE0501000, 0x80123B39
.long 0xD1FE0037, 0x02060903
	;; [unrolled: 1-line block ×11, first 2 shown]
.long 0xBF800001
.long 0xBF800000
	;; [unrolled: 1-line block ×11, first 2 shown]
.long 0xD0CC0038, 0x0001004A
.long 0xD1000011, 0x00E222F2
.long 0x0A242511
.long 0x02242510
.long 0x0A24243E
.long 0x0A2424FF, 0x4038AA3B
.long 0x7E244112
.long 0xBF800000
.long 0x022424F2
.long 0x7E244512
.long 0xBF800000
.long 0xD1CB0012, 0x03CA24F5
.long 0x0A24243F
.long 0x7E241512
.long 0xE068D000, 0x8003120D
.long 0xBF800000
.long 0xD0CC0038, 0x0001004A
.long 0xD1000017, 0x00E22EF2
.long 0x0A303117
.long 0x02303116
.long 0x0A30303E
.long 0x0A3030FF, 0x4038AA3B
.long 0x7E304118
.long 0xBF800000
.long 0x023030F2
.long 0x7E304518
.long 0xBF800000
.long 0xD1CB0018, 0x03CA30F5
.long 0x0A30303F
.long 0x7E301518
.long 0xE068D000, 0x80031813
.long 0xBF800000
	;; [unrolled: 16-line block ×8, first 2 shown]
.long 0xBF800000
.long 0xBF8201AE
.long 0x7E7A02FF, 0x80000000
.long 0xD0C90054, 0x00003900
	;; [unrolled: 1-line block ×3, first 2 shown]
.long 0x86D85854
.long 0x925402FF, 0x00000080
.long 0xD135000E, 0x0000A900
.long 0x241C1C82
.long 0xD100000E, 0x01621D3D
.long 0xBF8CC07F
.long 0xBF8A0000
.long 0xD86C0000, 0x1000000E
.long 0x241E0082
.long 0xE0501000, 0x8012110F
.long 0xD1FE000D, 0x02060103
.long 0xD100000D, 0x01621B3D
.long 0xD1196A04, 0x00010300
.long 0xD0C90054, 0x00003904
.long 0xD0C90058, 0x00003B01
.long 0x86D85854
.long 0x925402FF, 0x00000080
.long 0xD1350014, 0x0000A904
.long 0x24282882
.long 0xD1000014, 0x0162293D
.long 0xD86C0000, 0x16000014
.long 0x242A0882
.long 0xE0501000, 0x80121715
.long 0xD1FE0013, 0x02060903
.long 0xD1000013, 0x0162273D
.long 0xD1196A04, 0x00010500
.long 0xD0C90054, 0x00003904
.long 0xD0C90058, 0x00003B01
.long 0x86D85854
.long 0x925402FF, 0x00000080
.long 0xD135001A, 0x0000A904
.long 0x24343482
.long 0xD100001A, 0x0162353D
	;; [unrolled: 13-line block ×7, first 2 shown]
.long 0xD86C0000, 0x3A000038
.long 0x24720882
.long 0xE0501000, 0x80123B39
.long 0xD1FE0037, 0x02060903
	;; [unrolled: 1-line block ×11, first 2 shown]
.long 0xBF800001
.long 0xBF800000
	;; [unrolled: 1-line block ×11, first 2 shown]
.long 0xD0CC0038, 0x0001004A
.long 0xD1000011, 0x00E222F2
.long 0x0A242511
.long 0x02242510
.long 0x0A0824FF, 0x3D372713
.long 0xD1CB0004, 0x03CA0912
.long 0x0A080912
.long 0x0A0808FF, 0x40135761
.long 0x7E084104
.long 0xBF800000
.long 0x020808F2
.long 0x7E084504
.long 0xBF800000
.long 0xD1CB0004, 0x03D208F5
.long 0x0A080912
.long 0x0A0808F0
.long 0x0A24083E
.long 0x7E241512
.long 0xE068D000, 0x8003120D
.long 0xBF800000
.long 0xD0CC0038, 0x0001004A
.long 0xD1000017, 0x00E22EF2
.long 0x0A303117
.long 0x02303116
.long 0x0A0830FF, 0x3D372713
.long 0xD1CB0004, 0x03CA0918
.long 0x0A080918
.long 0x0A0808FF, 0x40135761
.long 0x7E084104
.long 0xBF800000
.long 0x020808F2
.long 0x7E084504
.long 0xBF800000
.long 0xD1CB0004, 0x03D208F5
.long 0x0A080918
.long 0x0A0808F0
.long 0x0A30083E
.long 0x7E301518
.long 0xE068D000, 0x80031813
.long 0xBF800000
	;; [unrolled: 20-line block ×8, first 2 shown]
.long 0xBF800000
.long 0xBF82152E
.long 0x86541CFF, 0x0000007F
.long 0x805514C1
.long 0xBF095502
	;; [unrolled: 1-line block ×29, first 2 shown]
.long 0xD1FE000E, 0x02060102
.long 0xE05C1000, 0x8004140E
	;; [unrolled: 1-line block ×4, first 2 shown]
.long 0x241E1E82
.long 0xBF8CC07F
	;; [unrolled: 1-line block ×3, first 2 shown]
.long 0xD9FE0000, 0x1800000F
.long 0xD9FE0010, 0x1C00000F
.long 0x24200082
.long 0xE05C1000, 0x80122010
.long 0xE05C1010, 0x80122410
	;; [unrolled: 1-line block ×11, first 2 shown]
.long 0xBF800001
.long 0xBF800000
	;; [unrolled: 1-line block ×11, first 2 shown]
.long 0xD0CC0038, 0x0001004A
.long 0xD1000020, 0x00E240F2
	;; [unrolled: 1-line block ×28, first 2 shown]
.long 0x7E501528
.long 0x7E521529
.long 0xD2A00028, 0x00025328
.long 0x7E54152A
.long 0x7E56152B
.long 0xD2A00029, 0x0002572A
	;; [unrolled: 3-line block ×4, first 2 shown]
.long 0xE07CD000, 0x8003280D
.long 0xBF800000
.long 0xBF800000
	;; [unrolled: 1-line block ×3, first 2 shown]
.long 0xD1FE000E, 0x02060102
.long 0xE05C1000, 0x8004140E
.long 0x924202FF, 0x00000080
.long 0xD135000F, 0x00008500
.long 0x241E1E82
.long 0xBF8CC07F
	;; [unrolled: 1-line block ×3, first 2 shown]
.long 0xD9FE0000, 0x1800000F
.long 0xD9FE0010, 0x1C00000F
.long 0x24200082
.long 0xE05C1000, 0x80122010
.long 0xE05C1010, 0x80122410
.long 0xD1FE000D, 0x02060103
.long 0xD3D84028, 0x18000100
.long 0xD3D84029, 0x18000104
.long 0xD3D8402A, 0x18000101
.long 0xD3D8402B, 0x18000105
.long 0xD3D8402C, 0x18000102
.long 0xD3D8402D, 0x18000106
.long 0xD3D8402E, 0x18000103
.long 0xD3D8402F, 0x18000107
.long 0xBF800001
.long 0xBF800000
	;; [unrolled: 1-line block ×11, first 2 shown]
.long 0xD0CC0038, 0x0001004A
.long 0xD1000020, 0x00E240F2
	;; [unrolled: 1-line block ×36, first 2 shown]
.long 0x7E501528
.long 0x7E521529
.long 0xD2A00028, 0x00025328
.long 0x7E54152A
.long 0x7E56152B
.long 0xD2A00029, 0x0002572A
	;; [unrolled: 3-line block ×4, first 2 shown]
.long 0xE07CD000, 0x8003280D
.long 0xBF800000
.long 0xBF800000
	;; [unrolled: 1-line block ×3, first 2 shown]
.long 0xD1FE000E, 0x02060102
.long 0xE05C1000, 0x8004140E
	;; [unrolled: 1-line block ×4, first 2 shown]
.long 0x241E1E82
.long 0xBF8CC07F
.long 0xBF8A0000
.long 0xD9FE0000, 0x1800000F
.long 0xD9FE0010, 0x1C00000F
.long 0x24200082
.long 0xE05C1000, 0x80122010
.long 0xE05C1010, 0x80122410
	;; [unrolled: 1-line block ×11, first 2 shown]
.long 0xBF800001
.long 0xBF800000
	;; [unrolled: 1-line block ×11, first 2 shown]
.long 0xD0CC0038, 0x0001004A
.long 0xD1000020, 0x00E240F2
	;; [unrolled: 1-line block ×29, first 2 shown]
.long 0x1450503F
.long 0x00505080
.long 0xD044006A, 0x00007D29
.long 0x1452523F
.long 0x00525280
.long 0xD044006A, 0x00007D2A
	;; [unrolled: 3-line block ×7, first 2 shown]
.long 0x145E5E3F
.long 0x005E5E80
	;; [unrolled: 1-line block ×4, first 2 shown]
.long 0xD2A00028, 0x00025328
.long 0x7E54152A
.long 0x7E56152B
.long 0xD2A00029, 0x0002572A
.long 0x7E58152C
.long 0x7E5A152D
	;; [unrolled: 3-line block ×3, first 2 shown]
.long 0xD2A0002B, 0x00025F2E
.long 0xE07CD000, 0x8003280D
.long 0xBF800000
.long 0xBF800000
	;; [unrolled: 1-line block ×3, first 2 shown]
.long 0xD1FE000E, 0x02060102
.long 0xE05C1000, 0x8004140E
	;; [unrolled: 1-line block ×4, first 2 shown]
.long 0x241E1E82
.long 0xBF8CC07F
	;; [unrolled: 1-line block ×3, first 2 shown]
.long 0xD9FE0000, 0x1800000F
.long 0xD9FE0010, 0x1C00000F
.long 0x24200082
.long 0xE05C1000, 0x80122010
.long 0xE05C1010, 0x80122410
	;; [unrolled: 1-line block ×11, first 2 shown]
.long 0xBF800001
.long 0xBF800000
	;; [unrolled: 1-line block ×11, first 2 shown]
.long 0xD0CC0038, 0x0001004A
.long 0xD1000020, 0x00E240F2
	;; [unrolled: 1-line block ×30, first 2 shown]
.long 0x0A080928
.long 0x0A0808FF, 0x40135761
.long 0x7E084104
.long 0xBF800000
.long 0x020808F2
.long 0x7E084504
.long 0xBF800000
.long 0xD1CB0004, 0x03D208F5
.long 0x0A080928
.long 0x0A5008F0
.long 0x0A0852FF, 0x3D372713
.long 0xD1CB0004, 0x03CA0929
.long 0x0A080929
.long 0x0A0808FF, 0x40135761
.long 0x7E084104
.long 0xBF800000
.long 0x020808F2
.long 0x7E084504
.long 0xBF800000
.long 0xD1CB0004, 0x03D208F5
.long 0x0A080929
.long 0x0A5208F0
.long 0x0A0854FF, 0x3D372713
.long 0xD1CB0004, 0x03CA092A
	;; [unrolled: 12-line block ×7, first 2 shown]
.long 0x0A08092F
.long 0x0A0808FF, 0x40135761
.long 0x7E084104
.long 0xBF800000
	;; [unrolled: 1-line block ×5, first 2 shown]
.long 0xD1CB0004, 0x03D208F5
.long 0x0A08092F
.long 0x0A5E08F0
	;; [unrolled: 1-line block ×4, first 2 shown]
.long 0xD2A00028, 0x00025328
.long 0x7E54152A
.long 0x7E56152B
.long 0xD2A00029, 0x0002572A
.long 0x7E58152C
.long 0x7E5A152D
	;; [unrolled: 3-line block ×3, first 2 shown]
.long 0xD2A0002B, 0x00025F2E
.long 0xE07CD000, 0x8003280D
.long 0xBF800000
.long 0xBF800000
	;; [unrolled: 1-line block ×3, first 2 shown]
.long 0xD1FE000E, 0x02060102
.long 0xE05C1000, 0x8004140E
	;; [unrolled: 1-line block ×4, first 2 shown]
.long 0x241E1E82
.long 0xBF8CC07F
	;; [unrolled: 1-line block ×3, first 2 shown]
.long 0xD9FE0000, 0x1800000F
.long 0xD9FE0010, 0x1C00000F
.long 0x24200082
.long 0xE05C1000, 0x80122010
.long 0xE05C1010, 0x80122410
	;; [unrolled: 1-line block ×11, first 2 shown]
.long 0xBF800001
.long 0xBF800000
	;; [unrolled: 1-line block ×11, first 2 shown]
.long 0xD0CC0038, 0x0001004A
.long 0xD1000020, 0x00E240F2
	;; [unrolled: 1-line block ×28, first 2 shown]
.long 0x0A08503E
.long 0xD046006A, 0x00010128
.long 0x00505104
.long 0x0A08523E
.long 0xD046006A, 0x00010129
.long 0x00525304
	;; [unrolled: 3-line block ×8, first 2 shown]
.long 0x7E501528
.long 0x7E521529
.long 0xD2A00028, 0x00025328
.long 0x7E54152A
.long 0x7E56152B
.long 0xD2A00029, 0x0002572A
	;; [unrolled: 3-line block ×4, first 2 shown]
.long 0xE07CD000, 0x8003280D
.long 0xBF800000
.long 0xBF800000
	;; [unrolled: 1-line block ×3, first 2 shown]
.long 0xD1FE000E, 0x02060102
.long 0xE05C1000, 0x8004140E
	;; [unrolled: 1-line block ×4, first 2 shown]
.long 0x241E1E82
.long 0xBF8CC07F
	;; [unrolled: 1-line block ×3, first 2 shown]
.long 0xD9FE0000, 0x1800000F
.long 0xD9FE0010, 0x1C00000F
.long 0x24200082
.long 0xE05C1000, 0x80122010
.long 0xE05C1010, 0x80122410
	;; [unrolled: 1-line block ×11, first 2 shown]
.long 0xBF800001
.long 0xBF800000
	;; [unrolled: 1-line block ×11, first 2 shown]
.long 0xD0CC0038, 0x0001004A
.long 0xD1000020, 0x00E240F2
	;; [unrolled: 1-line block ×36, first 2 shown]
.long 0x7E501528
.long 0x7E521529
.long 0xD2A00028, 0x00025328
.long 0x7E54152A
.long 0x7E56152B
.long 0xD2A00029, 0x0002572A
	;; [unrolled: 3-line block ×4, first 2 shown]
.long 0xE07CD000, 0x8003280D
.long 0xBF800000
.long 0xBF800000
	;; [unrolled: 1-line block ×3, first 2 shown]
.long 0xD1FE000E, 0x02060102
.long 0xE05C1000, 0x8004140E
	;; [unrolled: 1-line block ×4, first 2 shown]
.long 0x241E1E82
.long 0xBF8CC07F
.long 0xBF8A0000
.long 0xD9FE0000, 0x1800000F
.long 0xD9FE0010, 0x1C00000F
.long 0x24200082
.long 0xE05C1000, 0x80122010
.long 0xE05C1010, 0x80122410
	;; [unrolled: 1-line block ×11, first 2 shown]
.long 0xBF800001
.long 0xBF800000
	;; [unrolled: 1-line block ×11, first 2 shown]
.long 0xD0CC0038, 0x0001004A
.long 0xD1000020, 0x00E240F2
	;; [unrolled: 1-line block ×29, first 2 shown]
.long 0x7E504128
.long 0xBF800000
.long 0x025050F2
.long 0x7E504528
.long 0xBF800000
.long 0x0A5252FF, 0xBFB8AA3B
.long 0x7E524129
.long 0xBF800000
.long 0x025252F2
.long 0x7E524529
.long 0xBF800000
.long 0x0A5454FF, 0xBFB8AA3B
	;; [unrolled: 6-line block ×7, first 2 shown]
.long 0x7E5E412F
.long 0xBF800000
	;; [unrolled: 1-line block ×7, first 2 shown]
.long 0xD2A00028, 0x00025328
.long 0x7E54152A
.long 0x7E56152B
.long 0xD2A00029, 0x0002572A
.long 0x7E58152C
.long 0x7E5A152D
	;; [unrolled: 3-line block ×3, first 2 shown]
.long 0xD2A0002B, 0x00025F2E
.long 0xE07CD000, 0x8003280D
.long 0xBF800000
.long 0xBF800000
.long 0xBF8201DB
.long 0xD1FE000E, 0x02060102
.long 0xE05C1000, 0x8004140E
.long 0x924202FF, 0x00000080
.long 0xD135000F, 0x00008500
.long 0x241E1E82
.long 0xBF8CC07F
	;; [unrolled: 1-line block ×3, first 2 shown]
.long 0xD9FE0000, 0x1800000F
.long 0xD9FE0010, 0x1C00000F
.long 0x24200082
.long 0xE05C1000, 0x80122010
.long 0xE05C1010, 0x80122410
	;; [unrolled: 1-line block ×11, first 2 shown]
.long 0xBF800001
.long 0xBF800000
	;; [unrolled: 1-line block ×11, first 2 shown]
.long 0xD0CC0038, 0x0001004A
.long 0xD1000020, 0x00E240F2
	;; [unrolled: 1-line block ×28, first 2 shown]
.long 0x0A50503E
.long 0x0A5050FF, 0x4038AA3B
.long 0x7E504128
.long 0xBF800000
.long 0x025050F2
.long 0x7E504528
.long 0xBF800000
.long 0xD1CB0028, 0x03CA50F5
.long 0x0A50503F
.long 0x0A52523E
.long 0x0A5252FF, 0x4038AA3B
.long 0x7E524129
.long 0xBF800000
.long 0x025252F2
.long 0x7E524529
.long 0xBF800000
.long 0xD1CB0029, 0x03CA52F5
.long 0x0A52523F
	;; [unrolled: 9-line block ×8, first 2 shown]
.long 0x7E501528
.long 0x7E521529
.long 0xD2A00028, 0x00025328
.long 0x7E54152A
.long 0x7E56152B
.long 0xD2A00029, 0x0002572A
	;; [unrolled: 3-line block ×4, first 2 shown]
.long 0xE07CD000, 0x8003280D
.long 0xBF800000
.long 0xBF800000
	;; [unrolled: 1-line block ×3, first 2 shown]
.long 0xD1FE000E, 0x02060102
.long 0xE05C1000, 0x8004140E
	;; [unrolled: 1-line block ×4, first 2 shown]
.long 0x241E1E82
.long 0xBF8CC07F
	;; [unrolled: 1-line block ×3, first 2 shown]
.long 0xD9FE0000, 0x1800000F
.long 0xD9FE0010, 0x1C00000F
.long 0x24200082
.long 0xE05C1000, 0x80122010
.long 0xE05C1010, 0x80122410
	;; [unrolled: 1-line block ×11, first 2 shown]
.long 0xBF800001
.long 0xBF800000
	;; [unrolled: 1-line block ×11, first 2 shown]
.long 0xD0CC0038, 0x0001004A
.long 0xD1000020, 0x00E240F2
	;; [unrolled: 1-line block ×30, first 2 shown]
.long 0x0A080928
.long 0x0A0808FF, 0x40135761
.long 0x7E084104
.long 0xBF800000
.long 0x020808F2
.long 0x7E084504
.long 0xBF800000
.long 0xD1CB0004, 0x03D208F5
.long 0x0A080928
.long 0x0A0808F0
.long 0x0A50083E
.long 0x0A0852FF, 0x3D372713
.long 0xD1CB0004, 0x03CA0929
.long 0x0A080929
.long 0x0A0808FF, 0x40135761
.long 0x7E084104
.long 0xBF800000
.long 0x020808F2
.long 0x7E084504
.long 0xBF800000
.long 0xD1CB0004, 0x03D208F5
.long 0x0A080929
.long 0x0A0808F0
.long 0x0A52083E
.long 0x0A0854FF, 0x3D372713
.long 0xD1CB0004, 0x03CA092A
	;; [unrolled: 13-line block ×7, first 2 shown]
.long 0x0A08092F
.long 0x0A0808FF, 0x40135761
.long 0x7E084104
.long 0xBF800000
	;; [unrolled: 1-line block ×5, first 2 shown]
.long 0xD1CB0004, 0x03D208F5
.long 0x0A08092F
.long 0x0A0808F0
	;; [unrolled: 1-line block ×5, first 2 shown]
.long 0xD2A00028, 0x00025328
.long 0x7E54152A
.long 0x7E56152B
.long 0xD2A00029, 0x0002572A
.long 0x7E58152C
.long 0x7E5A152D
	;; [unrolled: 3-line block ×3, first 2 shown]
.long 0xD2A0002B, 0x00025F2E
.long 0xE07CD000, 0x8003280D
.long 0xBF800000
.long 0xBF800000
	;; [unrolled: 1-line block ×21, first 2 shown]
.long 0x7E8A02FF, 0x80000000
.long 0xD0C90054, 0x00003900
	;; [unrolled: 1-line block ×3, first 2 shown]
.long 0x86D85854
.long 0xD1FE000D, 0x02060102
.long 0xD100000D, 0x01621B45
	;; [unrolled: 1-line block ×5, first 2 shown]
.long 0x241C1C82
.long 0xD100000E, 0x01621D45
.long 0xBF8CC07F
.long 0xBF8A0000
.long 0xD86C0000, 0x1100000E
.long 0x241E0082
.long 0xE0501000, 0x8012120F
.long 0xD1FE000D, 0x02060103
.long 0xD100000D, 0x01621B45
.long 0xD1196A04, 0x00010300
.long 0xD0C90054, 0x00003904
.long 0xD0C90058, 0x00003B01
.long 0x86D85854
.long 0xD1FE0014, 0x02060902
.long 0xD1000014, 0x01622945
.long 0xE0941000, 0x80041714
.long 0x925402FF, 0x00000080
.long 0xD1350015, 0x0000A904
.long 0x242A2A82
.long 0xD1000015, 0x01622B45
.long 0xD86C0000, 0x18000015
.long 0x242C0882
.long 0xE0501000, 0x80121916
.long 0xD1FE0014, 0x02060903
.long 0xD1000014, 0x01622945
.long 0xD1196A04, 0x00010500
.long 0xD0C90054, 0x00003904
.long 0xD0C90058, 0x00003B01
.long 0x86D85854
.long 0xD1FE001B, 0x02060902
.long 0xD100001B, 0x01623745
.long 0xE0901000, 0x80041E1B
.long 0x925402FF, 0x00000080
.long 0xD135001C, 0x0000A904
.long 0x24383882
.long 0xD100001C, 0x01623945
	;; [unrolled: 16-line block ×7, first 2 shown]
.long 0xD86C0000, 0x4200003F
.long 0x24800882
.long 0xE0501000, 0x80124340
.long 0xD1FE003E, 0x02060903
	;; [unrolled: 1-line block ×11, first 2 shown]
.long 0xBF800001
.long 0xBF800000
	;; [unrolled: 1-line block ×11, first 2 shown]
.long 0xD0CC0038, 0x0001004A
.long 0xD1000012, 0x00E224F2
.long 0x0A262712
.long 0xD3A00013, 0x144E2031
.long 0x02262711
.long 0x7E261513
.long 0xE068D000, 0x8003130D
.long 0xBF800000
.long 0xD0CC0038, 0x0001004A
.long 0xD1000019, 0x00E232F2
.long 0x0A343519
.long 0xD3A0101A, 0x146A2E31
.long 0x02343518
.long 0x7E34151A
.long 0xE068D000, 0x80031A14
.long 0xBF800000
	;; [unrolled: 8-line block ×8, first 2 shown]
.long 0xBF800000
.long 0xBF820D2F
.long 0x7E8A02FF, 0x80000000
.long 0xD0C90054, 0x00003900
	;; [unrolled: 1-line block ×3, first 2 shown]
.long 0x86D85854
.long 0xD1FE000D, 0x02060102
.long 0xD100000D, 0x01621B45
	;; [unrolled: 1-line block ×5, first 2 shown]
.long 0x241C1C82
.long 0xD100000E, 0x01621D45
.long 0xBF8CC07F
.long 0xBF8A0000
.long 0xD86C0000, 0x1100000E
.long 0x241E0082
.long 0xE0501000, 0x8012120F
.long 0xD1FE000D, 0x02060103
.long 0xD100000D, 0x01621B45
.long 0xD1196A04, 0x00010300
.long 0xD0C90054, 0x00003904
.long 0xD0C90058, 0x00003B01
.long 0x86D85854
.long 0xD1FE0014, 0x02060902
.long 0xD1000014, 0x01622945
.long 0xE0941000, 0x80041714
.long 0x925402FF, 0x00000080
.long 0xD1350015, 0x0000A904
.long 0x242A2A82
.long 0xD1000015, 0x01622B45
.long 0xD86C0000, 0x18000015
.long 0x242C0882
.long 0xE0501000, 0x80121916
.long 0xD1FE0014, 0x02060903
.long 0xD1000014, 0x01622945
.long 0xD1196A04, 0x00010500
.long 0xD0C90054, 0x00003904
.long 0xD0C90058, 0x00003B01
.long 0x86D85854
.long 0xD1FE001B, 0x02060902
.long 0xD100001B, 0x01623745
.long 0xE0901000, 0x80041E1B
.long 0x925402FF, 0x00000080
.long 0xD135001C, 0x0000A904
.long 0x24383882
.long 0xD100001C, 0x01623945
	;; [unrolled: 16-line block ×7, first 2 shown]
.long 0xD86C0000, 0x4200003F
.long 0x24800882
.long 0xE0501000, 0x80124340
.long 0xD1FE003E, 0x02060903
	;; [unrolled: 1-line block ×11, first 2 shown]
.long 0xBF800001
.long 0xBF800000
	;; [unrolled: 1-line block ×11, first 2 shown]
.long 0xD0CC0038, 0x0001004A
.long 0xD1000012, 0x00E224F2
.long 0x0A262712
.long 0xD3A00013, 0x144E2031
.long 0x02262711
.long 0x262626FF, 0x7FFFFFFF
.long 0x7E261513
.long 0xE068D000, 0x8003130D
.long 0xBF800000
.long 0xD0CC0038, 0x0001004A
.long 0xD1000019, 0x00E232F2
.long 0x0A343519
.long 0xD3A0101A, 0x146A2E31
.long 0x02343518
.long 0x263434FF, 0x7FFFFFFF
.long 0x7E34151A
.long 0xE068D000, 0x80031A14
.long 0xBF800000
	;; [unrolled: 9-line block ×8, first 2 shown]
.long 0xBF800000
.long 0xBF820BB8
.long 0x7E8A02FF, 0x80000000
.long 0xD0C90054, 0x00003900
	;; [unrolled: 1-line block ×3, first 2 shown]
.long 0x86D85854
.long 0xD1FE000D, 0x02060102
.long 0xD100000D, 0x01621B45
	;; [unrolled: 1-line block ×5, first 2 shown]
.long 0x241C1C82
.long 0xD100000E, 0x01621D45
.long 0xBF8CC07F
.long 0xBF8A0000
.long 0xD86C0000, 0x1100000E
.long 0x241E0082
.long 0xE0501000, 0x8012120F
.long 0xD1FE000D, 0x02060103
.long 0xD100000D, 0x01621B45
.long 0xD1196A04, 0x00010300
.long 0xD0C90054, 0x00003904
.long 0xD0C90058, 0x00003B01
.long 0x86D85854
.long 0xD1FE0014, 0x02060902
.long 0xD1000014, 0x01622945
.long 0xE0941000, 0x80041714
.long 0x925402FF, 0x00000080
.long 0xD1350015, 0x0000A904
.long 0x242A2A82
.long 0xD1000015, 0x01622B45
.long 0xD86C0000, 0x18000015
.long 0x242C0882
.long 0xE0501000, 0x80121916
.long 0xD1FE0014, 0x02060903
.long 0xD1000014, 0x01622945
.long 0xD1196A04, 0x00010500
.long 0xD0C90054, 0x00003904
.long 0xD0C90058, 0x00003B01
.long 0x86D85854
.long 0xD1FE001B, 0x02060902
.long 0xD100001B, 0x01623745
.long 0xE0901000, 0x80041E1B
.long 0x925402FF, 0x00000080
.long 0xD135001C, 0x0000A904
.long 0x24383882
.long 0xD100001C, 0x01623945
	;; [unrolled: 16-line block ×7, first 2 shown]
.long 0xD86C0000, 0x4200003F
.long 0x24800882
.long 0xE0501000, 0x80124340
.long 0xD1FE003E, 0x02060903
	;; [unrolled: 1-line block ×11, first 2 shown]
.long 0xBF800001
.long 0xBF800000
.long 0x0A262630
.long 0x0A343430
.long 0x0A424230
.long 0x0A505030
.long 0x0A5E5E30
.long 0x0A6C6C30
.long 0x0A7A7A30
.long 0x0A888830
.long 0xBF8C0000
.long 0xD0CC0038, 0x0001004A
.long 0xD1000012, 0x00E224F2
.long 0x0A262712
.long 0xD3A00013, 0x144E2031
.long 0x02262711
.long 0xD044006A, 0x00007D13
.long 0x1426263F
.long 0x00262680
.long 0x7E261513
.long 0xE068D000, 0x8003130D
.long 0xBF800000
.long 0xD0CC0038, 0x0001004A
.long 0xD1000019, 0x00E232F2
.long 0x0A343519
.long 0xD3A0101A, 0x146A2E31
.long 0x02343518
.long 0xD044006A, 0x00007D1A
.long 0x1434343F
.long 0x00343480
.long 0x7E34151A
.long 0xE068D000, 0x80031A14
.long 0xBF800000
.long 0xD0CC0038, 0x0001004A
.long 0xD1000020, 0x00E240F2
.long 0x0A424320
.long 0xD3A00021, 0x14863C31
.long 0x0242431F
.long 0xD044006A, 0x00007D21
.long 0x1442423F
.long 0x00424280
.long 0x7E421521
.long 0xE068D000, 0x8003211B
.long 0xBF800000
.long 0xD0CC0038, 0x0001004A
.long 0xD1000027, 0x00E24EF2
.long 0x0A505127
.long 0xD3A01028, 0x14A24A31
.long 0x02505126
.long 0xD044006A, 0x00007D28
.long 0x1450503F
.long 0x00505080
.long 0x7E501528
.long 0xE068D000, 0x80032822
.long 0xBF800000
.long 0xD0CC0038, 0x0001004A
.long 0xD100002E, 0x00E25CF2
.long 0x0A5E5F2E
.long 0xD3A0002F, 0x14BE5831
.long 0x025E5F2D
.long 0xD044006A, 0x00007D2F
.long 0x145E5E3F
.long 0x005E5E80
.long 0x7E5E152F
.long 0xE068D000, 0x80032F29
.long 0xBF800000
.long 0xD0CC0038, 0x0001004A
.long 0xD1000035, 0x00E26AF2
.long 0x0A6C6D35
.long 0xD3A01036, 0x14DA6631
.long 0x026C6D34
.long 0xD044006A, 0x00007D36
.long 0x146C6C3F
.long 0x006C6C80
.long 0x7E6C1536
.long 0xE068D000, 0x80033630
.long 0xBF800000
.long 0xD0CC0038, 0x0001004A
.long 0xD100003C, 0x00E278F2
.long 0x0A7A7B3C
.long 0xD3A0003D, 0x14F67431
.long 0x027A7B3B
.long 0xD044006A, 0x00007D3D
.long 0x147A7A3F
.long 0x007A7A80
.long 0x7E7A153D
.long 0xE068D000, 0x80033D37
.long 0xBF800000
.long 0xD0CC0038, 0x0001004A
.long 0xD1000043, 0x00E286F2
.long 0x0A888943
.long 0xD3A01044, 0x15128231
.long 0x02888942
.long 0xD044006A, 0x00007D44
.long 0x1488883F
.long 0x00888880
.long 0x7E881544
.long 0xE068D000, 0x8003443E
.long 0xBF800000
.long 0xBF800000
.long 0xBF820A31
.long 0x7E8A02FF, 0x80000000
.long 0xD0C90054, 0x00003900
	;; [unrolled: 1-line block ×3, first 2 shown]
.long 0x86D85854
.long 0xD1FE000D, 0x02060102
.long 0xD100000D, 0x01621B45
	;; [unrolled: 1-line block ×5, first 2 shown]
.long 0x241C1C82
.long 0xD100000E, 0x01621D45
.long 0xBF8CC07F
.long 0xBF8A0000
.long 0xD86C0000, 0x1100000E
.long 0x241E0082
.long 0xE0501000, 0x8012120F
.long 0xD1FE000D, 0x02060103
.long 0xD100000D, 0x01621B45
.long 0xD1196A04, 0x00010300
.long 0xD0C90054, 0x00003904
.long 0xD0C90058, 0x00003B01
.long 0x86D85854
.long 0xD1FE0014, 0x02060902
.long 0xD1000014, 0x01622945
.long 0xE0941000, 0x80041714
.long 0x925402FF, 0x00000080
.long 0xD1350015, 0x0000A904
.long 0x242A2A82
.long 0xD1000015, 0x01622B45
.long 0xD86C0000, 0x18000015
.long 0x242C0882
.long 0xE0501000, 0x80121916
.long 0xD1FE0014, 0x02060903
.long 0xD1000014, 0x01622945
.long 0xD1196A04, 0x00010500
.long 0xD0C90054, 0x00003904
.long 0xD0C90058, 0x00003B01
.long 0x86D85854
.long 0xD1FE001B, 0x02060902
.long 0xD100001B, 0x01623745
.long 0xE0901000, 0x80041E1B
.long 0x925402FF, 0x00000080
.long 0xD135001C, 0x0000A904
.long 0x24383882
.long 0xD100001C, 0x01623945
	;; [unrolled: 16-line block ×7, first 2 shown]
.long 0xD86C0000, 0x4200003F
.long 0x24800882
.long 0xE0501000, 0x80124340
.long 0xD1FE003E, 0x02060903
	;; [unrolled: 1-line block ×11, first 2 shown]
.long 0xBF800001
.long 0xBF800000
	;; [unrolled: 1-line block ×11, first 2 shown]
.long 0xD0CC0038, 0x0001004A
.long 0xD1000012, 0x00E224F2
.long 0x0A262712
.long 0xD3A00013, 0x144E2031
.long 0x02262711
.long 0x0A0826FF, 0x3D372713
.long 0xD1CB0004, 0x03CA0913
.long 0x0A080913
.long 0x0A0808FF, 0x40135761
.long 0x7E084104
.long 0xBF800000
.long 0x020808F2
.long 0x7E084504
.long 0xBF800000
.long 0xD1CB0004, 0x03D208F5
.long 0x0A080913
.long 0x0A2608F0
.long 0x7E261513
.long 0xE068D000, 0x8003130D
.long 0xBF800000
.long 0xD0CC0038, 0x0001004A
.long 0xD1000019, 0x00E232F2
.long 0x0A343519
.long 0xD3A0101A, 0x146A2E31
.long 0x02343518
.long 0x0A0834FF, 0x3D372713
.long 0xD1CB0004, 0x03CA091A
.long 0x0A08091A
.long 0x0A0808FF, 0x40135761
.long 0x7E084104
.long 0xBF800000
.long 0x020808F2
.long 0x7E084504
.long 0xBF800000
.long 0xD1CB0004, 0x03D208F5
.long 0x0A08091A
.long 0x0A3408F0
.long 0x7E34151A
.long 0xE068D000, 0x80031A14
.long 0xBF800000
	;; [unrolled: 20-line block ×8, first 2 shown]
.long 0xBF800000
.long 0xBF82084A
.long 0x7E8A02FF, 0x80000000
.long 0xD0C90054, 0x00003900
	;; [unrolled: 1-line block ×3, first 2 shown]
.long 0x86D85854
.long 0xD1FE000D, 0x02060102
.long 0xD100000D, 0x01621B45
	;; [unrolled: 1-line block ×5, first 2 shown]
.long 0x241C1C82
.long 0xD100000E, 0x01621D45
.long 0xBF8CC07F
.long 0xBF8A0000
.long 0xD86C0000, 0x1100000E
.long 0x241E0082
.long 0xE0501000, 0x8012120F
.long 0xD1FE000D, 0x02060103
.long 0xD100000D, 0x01621B45
.long 0xD1196A04, 0x00010300
.long 0xD0C90054, 0x00003904
.long 0xD0C90058, 0x00003B01
.long 0x86D85854
.long 0xD1FE0014, 0x02060902
.long 0xD1000014, 0x01622945
.long 0xE0941000, 0x80041714
.long 0x925402FF, 0x00000080
.long 0xD1350015, 0x0000A904
.long 0x242A2A82
.long 0xD1000015, 0x01622B45
.long 0xD86C0000, 0x18000015
.long 0x242C0882
.long 0xE0501000, 0x80121916
.long 0xD1FE0014, 0x02060903
.long 0xD1000014, 0x01622945
.long 0xD1196A04, 0x00010500
.long 0xD0C90054, 0x00003904
.long 0xD0C90058, 0x00003B01
.long 0x86D85854
.long 0xD1FE001B, 0x02060902
.long 0xD100001B, 0x01623745
.long 0xE0901000, 0x80041E1B
.long 0x925402FF, 0x00000080
.long 0xD135001C, 0x0000A904
.long 0x24383882
.long 0xD100001C, 0x01623945
	;; [unrolled: 16-line block ×7, first 2 shown]
.long 0xD86C0000, 0x4200003F
.long 0x24800882
.long 0xE0501000, 0x80124340
.long 0xD1FE003E, 0x02060903
	;; [unrolled: 1-line block ×11, first 2 shown]
.long 0xBF800001
.long 0xBF800000
.long 0x0A262630
.long 0x0A343430
.long 0x0A424230
.long 0x0A505030
.long 0x0A5E5E30
.long 0x0A6C6C30
.long 0x0A7A7A30
.long 0x0A888830
.long 0xBF8C0000
.long 0xD0CC0038, 0x0001004A
.long 0xD1000012, 0x00E224F2
.long 0x0A262712
.long 0xD3A00013, 0x144E2031
.long 0x02262711
.long 0x0A08263E
.long 0xD046006A, 0x00010113
.long 0x00262704
.long 0x7E261513
.long 0xE068D000, 0x8003130D
.long 0xBF800000
.long 0xD0CC0038, 0x0001004A
.long 0xD1000019, 0x00E232F2
.long 0x0A343519
.long 0xD3A0101A, 0x146A2E31
.long 0x02343518
.long 0x0A08343E
.long 0xD046006A, 0x0001011A
.long 0x00343504
.long 0x7E34151A
.long 0xE068D000, 0x80031A14
.long 0xBF800000
	;; [unrolled: 11-line block ×8, first 2 shown]
.long 0xBF800000
.long 0xBF8206C3
.long 0x7E8A02FF, 0x80000000
.long 0xD0C90054, 0x00003900
	;; [unrolled: 1-line block ×3, first 2 shown]
.long 0x86D85854
.long 0xD1FE000D, 0x02060102
.long 0xD100000D, 0x01621B45
	;; [unrolled: 1-line block ×5, first 2 shown]
.long 0x241C1C82
.long 0xD100000E, 0x01621D45
.long 0xBF8CC07F
.long 0xBF8A0000
.long 0xD86C0000, 0x1100000E
.long 0x241E0082
.long 0xE0501000, 0x8012120F
.long 0xD1FE000D, 0x02060103
.long 0xD100000D, 0x01621B45
.long 0xD1196A04, 0x00010300
.long 0xD0C90054, 0x00003904
.long 0xD0C90058, 0x00003B01
.long 0x86D85854
.long 0xD1FE0014, 0x02060902
.long 0xD1000014, 0x01622945
.long 0xE0941000, 0x80041714
.long 0x925402FF, 0x00000080
.long 0xD1350015, 0x0000A904
.long 0x242A2A82
.long 0xD1000015, 0x01622B45
.long 0xD86C0000, 0x18000015
.long 0x242C0882
.long 0xE0501000, 0x80121916
.long 0xD1FE0014, 0x02060903
.long 0xD1000014, 0x01622945
.long 0xD1196A04, 0x00010500
.long 0xD0C90054, 0x00003904
.long 0xD0C90058, 0x00003B01
.long 0x86D85854
.long 0xD1FE001B, 0x02060902
.long 0xD100001B, 0x01623745
.long 0xE0901000, 0x80041E1B
.long 0x925402FF, 0x00000080
.long 0xD135001C, 0x0000A904
.long 0x24383882
.long 0xD100001C, 0x01623945
	;; [unrolled: 16-line block ×7, first 2 shown]
.long 0xD86C0000, 0x4200003F
.long 0x24800882
.long 0xE0501000, 0x80124340
.long 0xD1FE003E, 0x02060903
	;; [unrolled: 1-line block ×11, first 2 shown]
.long 0xBF800001
.long 0xBF800000
	;; [unrolled: 1-line block ×11, first 2 shown]
.long 0xD0CC0038, 0x0001004A
.long 0xD1000012, 0x00E224F2
.long 0x0A262712
.long 0xD3A00013, 0x144E2031
.long 0x02262711
.long 0xD10B0013, 0x00010113
.long 0x7E261513
.long 0xE068D000, 0x8003130D
.long 0xBF800000
.long 0xD0CC0038, 0x0001004A
.long 0xD1000019, 0x00E232F2
.long 0x0A343519
.long 0xD3A0101A, 0x146A2E31
.long 0x02343518
.long 0xD10B001A, 0x0001011A
.long 0x7E34151A
.long 0xE068D000, 0x80031A14
.long 0xBF800000
	;; [unrolled: 9-line block ×8, first 2 shown]
.long 0xBF800000
.long 0xBF82054C
.long 0x7E8A02FF, 0x80000000
.long 0xD0C90054, 0x00003900
	;; [unrolled: 1-line block ×3, first 2 shown]
.long 0x86D85854
.long 0xD1FE000D, 0x02060102
.long 0xD100000D, 0x01621B45
.long 0xE0901000, 0x8004100D
.long 0x925402FF, 0x00000080
.long 0xD135000E, 0x0000A900
.long 0x241C1C82
.long 0xD100000E, 0x01621D45
.long 0xBF8CC07F
.long 0xBF8A0000
.long 0xD86C0000, 0x1100000E
.long 0x241E0082
.long 0xE0501000, 0x8012120F
.long 0xD1FE000D, 0x02060103
.long 0xD100000D, 0x01621B45
.long 0xD1196A04, 0x00010300
.long 0xD0C90054, 0x00003904
.long 0xD0C90058, 0x00003B01
.long 0x86D85854
.long 0xD1FE0014, 0x02060902
.long 0xD1000014, 0x01622945
.long 0xE0941000, 0x80041714
.long 0x925402FF, 0x00000080
.long 0xD1350015, 0x0000A904
.long 0x242A2A82
.long 0xD1000015, 0x01622B45
.long 0xD86C0000, 0x18000015
.long 0x242C0882
.long 0xE0501000, 0x80121916
.long 0xD1FE0014, 0x02060903
.long 0xD1000014, 0x01622945
.long 0xD1196A04, 0x00010500
.long 0xD0C90054, 0x00003904
.long 0xD0C90058, 0x00003B01
.long 0x86D85854
.long 0xD1FE001B, 0x02060902
.long 0xD100001B, 0x01623745
.long 0xE0901000, 0x80041E1B
.long 0x925402FF, 0x00000080
.long 0xD135001C, 0x0000A904
.long 0x24383882
.long 0xD100001C, 0x01623945
	;; [unrolled: 16-line block ×7, first 2 shown]
.long 0xD86C0000, 0x4200003F
.long 0x24800882
.long 0xE0501000, 0x80124340
.long 0xD1FE003E, 0x02060903
	;; [unrolled: 1-line block ×11, first 2 shown]
.long 0xBF800001
.long 0xBF800000
	;; [unrolled: 1-line block ×11, first 2 shown]
.long 0xD0CC0038, 0x0001004A
.long 0xD1000012, 0x00E224F2
.long 0x0A262712
.long 0xD3A00013, 0x144E2031
.long 0x02262711
.long 0x0A2626FF, 0xBFB8AA3B
.long 0x7E264113
.long 0xBF800000
.long 0x022626F2
.long 0x7E264513
.long 0xBF800000
.long 0x7E261513
.long 0xE068D000, 0x8003130D
.long 0xBF800000
.long 0xD0CC0038, 0x0001004A
.long 0xD1000019, 0x00E232F2
.long 0x0A343519
.long 0xD3A0101A, 0x146A2E31
.long 0x02343518
.long 0x0A3434FF, 0xBFB8AA3B
.long 0x7E34411A
.long 0xBF800000
.long 0x023434F2
.long 0x7E34451A
.long 0xBF800000
.long 0x7E34151A
.long 0xE068D000, 0x80031A14
.long 0xBF800000
	;; [unrolled: 14-line block ×8, first 2 shown]
.long 0xBF800000
.long 0xBF8203AD
.long 0x7E8A02FF, 0x80000000
.long 0xD0C90054, 0x00003900
	;; [unrolled: 1-line block ×3, first 2 shown]
.long 0x86D85854
.long 0xD1FE000D, 0x02060102
.long 0xD100000D, 0x01621B45
	;; [unrolled: 1-line block ×5, first 2 shown]
.long 0x241C1C82
.long 0xD100000E, 0x01621D45
.long 0xBF8CC07F
.long 0xBF8A0000
.long 0xD86C0000, 0x1100000E
.long 0x241E0082
.long 0xE0501000, 0x8012120F
.long 0xD1FE000D, 0x02060103
.long 0xD100000D, 0x01621B45
.long 0xD1196A04, 0x00010300
.long 0xD0C90054, 0x00003904
.long 0xD0C90058, 0x00003B01
.long 0x86D85854
.long 0xD1FE0014, 0x02060902
.long 0xD1000014, 0x01622945
.long 0xE0941000, 0x80041714
.long 0x925402FF, 0x00000080
.long 0xD1350015, 0x0000A904
.long 0x242A2A82
.long 0xD1000015, 0x01622B45
.long 0xD86C0000, 0x18000015
.long 0x242C0882
.long 0xE0501000, 0x80121916
.long 0xD1FE0014, 0x02060903
.long 0xD1000014, 0x01622945
.long 0xD1196A04, 0x00010500
.long 0xD0C90054, 0x00003904
.long 0xD0C90058, 0x00003B01
.long 0x86D85854
.long 0xD1FE001B, 0x02060902
.long 0xD100001B, 0x01623745
.long 0xE0901000, 0x80041E1B
.long 0x925402FF, 0x00000080
.long 0xD135001C, 0x0000A904
.long 0x24383882
.long 0xD100001C, 0x01623945
	;; [unrolled: 16-line block ×7, first 2 shown]
.long 0xD86C0000, 0x4200003F
.long 0x24800882
.long 0xE0501000, 0x80124340
.long 0xD1FE003E, 0x02060903
	;; [unrolled: 1-line block ×11, first 2 shown]
.long 0xBF800001
.long 0xBF800000
	;; [unrolled: 1-line block ×11, first 2 shown]
.long 0xD0CC0038, 0x0001004A
.long 0xD1000012, 0x00E224F2
.long 0x0A262712
.long 0xD3A00013, 0x144E2031
.long 0x02262711
.long 0x0A26263E
.long 0x0A2626FF, 0x4038AA3B
.long 0x7E264113
.long 0xBF800000
.long 0x022626F2
.long 0x7E264513
.long 0xBF800000
.long 0xD1CB0013, 0x03CA26F5
.long 0x0A26263F
.long 0x7E261513
.long 0xE068D000, 0x8003130D
.long 0xBF800000
.long 0xD0CC0038, 0x0001004A
.long 0xD1000019, 0x00E232F2
.long 0x0A343519
.long 0xD3A0101A, 0x146A2E31
.long 0x02343518
.long 0x0A34343E
.long 0x0A3434FF, 0x4038AA3B
.long 0x7E34411A
.long 0xBF800000
.long 0x023434F2
.long 0x7E34451A
.long 0xBF800000
.long 0xD1CB001A, 0x03CA34F5
.long 0x0A34343F
.long 0x7E34151A
.long 0xE068D000, 0x80031A14
.long 0xBF800000
	;; [unrolled: 17-line block ×8, first 2 shown]
.long 0xBF800000
.long 0xBF8201EE
.long 0x7E8A02FF, 0x80000000
.long 0xD0C90054, 0x00003900
	;; [unrolled: 1-line block ×3, first 2 shown]
.long 0x86D85854
.long 0xD1FE000D, 0x02060102
.long 0xD100000D, 0x01621B45
	;; [unrolled: 1-line block ×5, first 2 shown]
.long 0x241C1C82
.long 0xD100000E, 0x01621D45
.long 0xBF8CC07F
.long 0xBF8A0000
.long 0xD86C0000, 0x1100000E
.long 0x241E0082
.long 0xE0501000, 0x8012120F
.long 0xD1FE000D, 0x02060103
.long 0xD100000D, 0x01621B45
.long 0xD1196A04, 0x00010300
.long 0xD0C90054, 0x00003904
.long 0xD0C90058, 0x00003B01
.long 0x86D85854
.long 0xD1FE0014, 0x02060902
.long 0xD1000014, 0x01622945
.long 0xE0941000, 0x80041714
.long 0x925402FF, 0x00000080
.long 0xD1350015, 0x0000A904
.long 0x242A2A82
.long 0xD1000015, 0x01622B45
.long 0xD86C0000, 0x18000015
.long 0x242C0882
.long 0xE0501000, 0x80121916
.long 0xD1FE0014, 0x02060903
.long 0xD1000014, 0x01622945
.long 0xD1196A04, 0x00010500
.long 0xD0C90054, 0x00003904
.long 0xD0C90058, 0x00003B01
.long 0x86D85854
.long 0xD1FE001B, 0x02060902
.long 0xD100001B, 0x01623745
.long 0xE0901000, 0x80041E1B
.long 0x925402FF, 0x00000080
.long 0xD135001C, 0x0000A904
.long 0x24383882
.long 0xD100001C, 0x01623945
	;; [unrolled: 16-line block ×7, first 2 shown]
.long 0xD86C0000, 0x4200003F
.long 0x24800882
.long 0xE0501000, 0x80124340
.long 0xD1FE003E, 0x02060903
	;; [unrolled: 1-line block ×11, first 2 shown]
.long 0xBF800001
.long 0xBF800000
	;; [unrolled: 1-line block ×11, first 2 shown]
.long 0xD0CC0038, 0x0001004A
.long 0xD1000012, 0x00E224F2
.long 0x0A262712
.long 0xD3A00013, 0x144E2031
.long 0x02262711
.long 0x0A0826FF, 0x3D372713
.long 0xD1CB0004, 0x03CA0913
.long 0x0A080913
.long 0x0A0808FF, 0x40135761
.long 0x7E084104
.long 0xBF800000
.long 0x020808F2
.long 0x7E084504
.long 0xBF800000
.long 0xD1CB0004, 0x03D208F5
.long 0x0A080913
.long 0x0A0808F0
.long 0x0A26083E
.long 0x7E261513
.long 0xE068D000, 0x8003130D
.long 0xBF800000
.long 0xD0CC0038, 0x0001004A
.long 0xD1000019, 0x00E232F2
.long 0x0A343519
.long 0xD3A0101A, 0x146A2E31
.long 0x02343518
.long 0x0A0834FF, 0x3D372713
.long 0xD1CB0004, 0x03CA091A
.long 0x0A08091A
.long 0x0A0808FF, 0x40135761
.long 0x7E084104
.long 0xBF800000
.long 0x020808F2
.long 0x7E084504
.long 0xBF800000
.long 0xD1CB0004, 0x03D208F5
.long 0x0A08091A
.long 0x0A0808F0
.long 0x0A34083E
.long 0x7E34151A
.long 0xE068D000, 0x80031A14
.long 0xBF800000
	;; [unrolled: 21-line block ×8, first 2 shown]
.long 0xBF800000
.long 0xBF820000
	;; [unrolled: 1-line block ×3, first 2 shown]
